;; amdgpu-corpus repo=ROCm/rocFFT kind=compiled arch=gfx1201 opt=O3
	.text
	.amdgcn_target "amdgcn-amd-amdhsa--gfx1201"
	.amdhsa_code_object_version 6
	.protected	bluestein_single_fwd_len1404_dim1_dp_op_CI_CI ; -- Begin function bluestein_single_fwd_len1404_dim1_dp_op_CI_CI
	.globl	bluestein_single_fwd_len1404_dim1_dp_op_CI_CI
	.p2align	8
	.type	bluestein_single_fwd_len1404_dim1_dp_op_CI_CI,@function
bluestein_single_fwd_len1404_dim1_dp_op_CI_CI: ; @bluestein_single_fwd_len1404_dim1_dp_op_CI_CI
; %bb.0:
	s_load_b128 s[16:19], s[0:1], 0x28
	v_mul_u32_u24_e32 v1, 0x231, v0
	s_mov_b32 s2, exec_lo
	v_mov_b32_e32 v6, 0
	s_delay_alu instid0(VALU_DEP_2) | instskip(NEXT) | instid1(VALU_DEP_1)
	v_lshrrev_b32_e32 v1, 16, v1
	v_add_nc_u32_e32 v5, ttmp9, v1
	s_wait_kmcnt 0x0
	s_delay_alu instid0(VALU_DEP_1)
	v_cmpx_gt_u64_e64 s[16:17], v[5:6]
	s_cbranch_execz .LBB0_10
; %bb.1:
	s_clause 0x1
	s_load_b128 s[4:7], s[0:1], 0x18
	s_load_b128 s[8:11], s[0:1], 0x0
	v_mul_lo_u16 v1, 0x75, v1
	s_movk_i32 s2, 0xdb70
	s_mov_b32 s3, -1
	s_delay_alu instid0(VALU_DEP_1) | instskip(NEXT) | instid1(VALU_DEP_1)
	v_sub_nc_u16 v0, v0, v1
	v_and_b32_e32 v214, 0xffff, v0
	s_delay_alu instid0(VALU_DEP_1)
	v_dual_mov_b32 v6, v5 :: v_dual_lshlrev_b32 v255, 4, v214
	scratch_store_b64 off, v[6:7], off offset:160 ; 8-byte Folded Spill
	s_wait_kmcnt 0x0
	s_load_b128 s[12:15], s[4:5], 0x0
	s_clause 0x9
	global_load_b128 v[35:38], v255, s[8:9]
	global_load_b128 v[39:42], v255, s[8:9] offset:1872
	global_load_b128 v[43:46], v255, s[8:9] offset:11232
	;; [unrolled: 1-line block ×9, first 2 shown]
	s_wait_kmcnt 0x0
	v_mad_co_u64_u32 v[1:2], null, s14, v5, 0
	v_mad_co_u64_u32 v[3:4], null, s12, v214, 0
	s_mul_u64 s[4:5], s[12:13], 0x2be0
	s_mul_u64 s[2:3], s[12:13], s[2:3]
	s_delay_alu instid0(VALU_DEP_1) | instskip(NEXT) | instid1(VALU_DEP_1)
	v_mad_co_u64_u32 v[5:6], null, s15, v5, v[2:3]
	v_mad_co_u64_u32 v[6:7], null, s13, v214, v[4:5]
	v_mov_b32_e32 v2, v5
	s_mov_b32 s13, 0xbfebb67a
	s_delay_alu instid0(VALU_DEP_1) | instskip(NEXT) | instid1(VALU_DEP_3)
	v_lshlrev_b64_e32 v[1:2], 4, v[1:2]
	v_mov_b32_e32 v4, v6
	s_delay_alu instid0(VALU_DEP_2) | instskip(NEXT) | instid1(VALU_DEP_2)
	v_add_co_u32 v1, vcc_lo, s18, v1
	v_lshlrev_b64_e32 v[3:4], 4, v[3:4]
	s_delay_alu instid0(VALU_DEP_4) | instskip(NEXT) | instid1(VALU_DEP_2)
	v_add_co_ci_u32_e32 v2, vcc_lo, s19, v2, vcc_lo
	v_add_co_u32 v1, vcc_lo, v1, v3
	s_wait_alu 0xfffd
	s_delay_alu instid0(VALU_DEP_2) | instskip(NEXT) | instid1(VALU_DEP_2)
	v_add_co_ci_u32_e32 v2, vcc_lo, v2, v4, vcc_lo
	v_add_co_u32 v5, vcc_lo, v1, s4
	s_wait_alu 0xfffd
	s_delay_alu instid0(VALU_DEP_2) | instskip(NEXT) | instid1(VALU_DEP_2)
	v_add_co_ci_u32_e32 v6, vcc_lo, s5, v2, vcc_lo
	v_add_co_u32 v9, vcc_lo, v5, s2
	s_wait_alu 0xfffd
	s_delay_alu instid0(VALU_DEP_2)
	v_add_co_ci_u32_e32 v10, vcc_lo, s3, v6, vcc_lo
	s_clause 0x1
	global_load_b128 v[1:4], v[1:2], off
	global_load_b128 v[5:8], v[5:6], off
	v_add_co_u32 v13, vcc_lo, v9, s4
	s_wait_alu 0xfffd
	v_add_co_ci_u32_e32 v14, vcc_lo, s5, v10, vcc_lo
	s_delay_alu instid0(VALU_DEP_2) | instskip(SKIP_1) | instid1(VALU_DEP_2)
	v_add_co_u32 v17, vcc_lo, v13, s2
	s_wait_alu 0xfffd
	v_add_co_ci_u32_e32 v18, vcc_lo, s3, v14, vcc_lo
	s_clause 0x1
	global_load_b128 v[9:12], v[9:10], off
	global_load_b128 v[13:16], v[13:14], off
	v_add_co_u32 v21, vcc_lo, v17, s4
	s_wait_alu 0xfffd
	v_add_co_ci_u32_e32 v22, vcc_lo, s5, v18, vcc_lo
	global_load_b128 v[17:20], v[17:18], off
	v_add_co_u32 v23, vcc_lo, v21, s2
	s_wait_alu 0xfffd
	v_add_co_ci_u32_e32 v24, vcc_lo, s3, v22, vcc_lo
	;; [unrolled: 4-line block ×6, first 2 shown]
	v_add_co_u32 v193, s2, 0x75, v214
	s_delay_alu instid0(VALU_DEP_3) | instskip(SKIP_1) | instid1(VALU_DEP_3)
	v_add_co_u32 v21, vcc_lo, v25, s4
	s_wait_alu 0xfffd
	v_add_co_ci_u32_e32 v22, vcc_lo, s5, v26, vcc_lo
	global_load_b128 v[64:67], v[23:24], off
	global_load_b128 v[138:141], v255, s[8:9] offset:9360
	global_load_b128 v[68:71], v[25:26], off
	global_load_b128 v[142:145], v255, s[8:9] offset:20592
	global_load_b128 v[72:75], v[21:22], off
	s_load_b128 s[4:7], s[6:7], 0x0
	v_add_co_ci_u32_e64 v188, null, 0, 0, s2
	v_lshlrev_b32_e32 v194, 1, v193
	v_cmp_gt_u16_e32 vcc_lo, 0x6c, v0
	s_wait_loadcnt 0x15
	scratch_store_b128 off, v[43:46], off offset:48 ; 16-byte Folded Spill
	s_wait_loadcnt 0x14
	s_clause 0x2
	scratch_store_b128 off, v[110:113], off offset:64
	scratch_store_b128 off, v[35:38], off offset:16
	;; [unrolled: 1-line block ×3, first 2 shown]
	s_wait_loadcnt 0x13
	scratch_store_b128 off, v[114:117], off offset:80 ; 16-byte Folded Spill
	s_wait_loadcnt 0x12
	scratch_store_b128 off, v[118:121], off offset:96 ; 16-byte Folded Spill
	s_wait_loadcnt 0x11
	scratch_store_b128 off, v[122:125], off offset:112 ; 16-byte Folded Spill
	s_wait_loadcnt 0x10
	scratch_store_b128 off, v[126:129], off offset:128 ; 16-byte Folded Spill
	s_wait_loadcnt 0xf
	scratch_store_b128 off, v[130:133], off offset:144 ; 16-byte Folded Spill
	s_wait_loadcnt 0xe
	scratch_store_b128 off, v[134:137], off offset:168 ; 16-byte Folded Spill
	s_wait_loadcnt 0xd
	v_mul_f64_e32 v[21:22], v[3:4], v[37:38]
	v_mul_f64_e32 v[23:24], v[1:2], v[37:38]
	s_wait_loadcnt 0xc
	v_mul_f64_e32 v[25:26], v[7:8], v[45:46]
	v_mul_f64_e32 v[27:28], v[5:6], v[45:46]
	v_and_b32_e32 v38, 1, v193
	s_wait_loadcnt 0xb
	v_mul_f64_e32 v[29:30], v[11:12], v[41:42]
	v_mul_f64_e32 v[31:32], v[9:10], v[41:42]
	s_wait_loadcnt 0xa
	v_mul_f64_e32 v[33:34], v[15:16], v[112:113]
	v_mul_f64_e32 v[76:77], v[13:14], v[112:113]
	;; [unrolled: 3-line block ×7, first 2 shown]
	v_fma_f64 v[1:2], v[1:2], v[35:36], v[21:22]
	v_fma_f64 v[3:4], v[3:4], v[35:36], -v[23:24]
	v_fma_f64 v[5:6], v[5:6], v[43:44], v[25:26]
	v_fma_f64 v[7:8], v[7:8], v[43:44], -v[27:28]
	v_add_co_u32 v23, null, 0x15f, v214
	s_wait_loadcnt 0x4
	v_mul_f64_e32 v[98:99], v[66:67], v[136:137]
	s_wait_loadcnt 0x2
	v_mul_f64_e32 v[102:103], v[70:71], v[140:141]
	v_mul_f64_e32 v[104:105], v[68:69], v[140:141]
	;; [unrolled: 1-line block ×3, first 2 shown]
	s_wait_loadcnt 0x0
	v_mul_f64_e32 v[106:107], v[74:75], v[144:145]
	v_mul_f64_e32 v[108:109], v[72:73], v[144:145]
	v_fma_f64 v[9:10], v[9:10], v[39:40], v[29:30]
	v_fma_f64 v[11:12], v[11:12], v[39:40], -v[31:32]
	v_fma_f64 v[13:14], v[13:14], v[110:111], v[33:34]
	v_fma_f64 v[15:16], v[15:16], v[110:111], -v[76:77]
	;; [unrolled: 2-line block ×3, first 2 shown]
	s_clause 0x1
	scratch_store_b128 off, v[138:141], off offset:184
	scratch_store_b128 off, v[142:145], off offset:200
	v_lshlrev_b32_e32 v27, 5, v214
	v_fma_f64 v[48:49], v[48:49], v[122:123], v[82:83]
	v_fma_f64 v[50:51], v[50:51], v[122:123], -v[84:85]
	v_and_b32_e32 v37, 1, v23
	v_lshlrev_b32_e32 v24, 5, v193
	v_fma_f64 v[52:53], v[52:53], v[118:119], v[86:87]
	v_fma_f64 v[54:55], v[54:55], v[118:119], -v[88:89]
	v_fma_f64 v[56:57], v[56:57], v[126:127], v[90:91]
	v_fma_f64 v[58:59], v[58:59], v[126:127], -v[92:93]
	;; [unrolled: 2-line block ×3, first 2 shown]
	v_fma_f64 v[64:65], v[64:65], v[134:135], v[98:99]
	v_fma_f64 v[68:69], v[68:69], v[138:139], v[102:103]
	v_fma_f64 v[70:71], v[70:71], v[138:139], -v[104:105]
	v_fma_f64 v[66:67], v[66:67], v[134:135], -v[100:101]
	v_fma_f64 v[72:73], v[72:73], v[142:143], v[106:107]
	v_fma_f64 v[74:75], v[74:75], v[142:143], -v[108:109]
	ds_store_b128 v255, v[1:4]
	ds_store_b128 v255, v[9:12] offset:1872
	ds_store_b128 v255, v[5:8] offset:11232
	;; [unrolled: 1-line block ×11, first 2 shown]
	global_wb scope:SCOPE_SE
	s_wait_storecnt_dscnt 0x0
	s_wait_kmcnt 0x0
	s_barrier_signal -1
	s_barrier_wait -1
	global_inv scope:SCOPE_SE
	ds_load_b128 v[1:4], v255 offset:11232
	ds_load_b128 v[5:8], v255
	ds_load_b128 v[9:12], v255 offset:1872
	ds_load_b128 v[13:16], v255 offset:13104
	;; [unrolled: 1-line block ×10, first 2 shown]
	global_wb scope:SCOPE_SE
	s_wait_dscnt 0x0
	s_barrier_signal -1
	s_barrier_wait -1
	global_inv scope:SCOPE_SE
	v_add_f64_e64 v[76:77], v[5:6], -v[1:2]
	v_add_f64_e64 v[78:79], v[7:8], -v[3:4]
	;; [unrolled: 1-line block ×12, first 2 shown]
	v_add_co_u32 v20, s2, 0xea, v214
	s_wait_alu 0xf1ff
	v_add_co_ci_u32_e64 v1, null, 0, 0, s2
	v_lshlrev_b32_e32 v1, 1, v214
	v_add_nc_u32_e32 v2, 0x249, v214
	v_and_b32_e32 v19, 1, v214
	v_lshlrev_b32_e32 v18, 5, v20
	v_lshlrev_b32_e32 v17, 5, v23
	v_add_nc_u32_e32 v21, 0x3a8, v1
	v_and_b32_e32 v36, 1, v2
	v_lshlrev_b32_e32 v26, 5, v2
	v_lshlrev_b32_e32 v171, 4, v1
	v_and_or_b32 v1, 0xfc, v1, v19
	v_lshlrev_b32_e32 v25, 4, v21
	v_lshlrev_b32_e32 v2, 1, v2
	v_and_b32_e32 v41, 3, v20
	s_load_b64 s[2:3], s[0:1], 0x38
	s_mov_b32 s0, 0xe8584caa
	s_mov_b32 s1, 0x3febb67a
	v_and_or_b32 v2, 0x5fc, v2, v36
	s_wait_alu 0xfffe
	s_mov_b32 s12, s0
	v_fma_f64 v[3:4], v[5:6], 2.0, -v[76:77]
	v_fma_f64 v[5:6], v[7:8], 2.0, -v[78:79]
	;; [unrolled: 1-line block ×12, first 2 shown]
	v_lshlrev_b32_e32 v11, 4, v19
	v_lshlrev_b32_e32 v12, 4, v36
	ds_store_b128 v27, v[3:6]
	ds_store_b128 v27, v[76:79] offset:16
	ds_store_b128 v24, v[7:10]
	v_lshlrev_b32_e32 v3, 4, v37
	scratch_store_b32 off, v24, off offset:248 ; 4-byte Folded Spill
	ds_store_b128 v24, v[13:16] offset:16
	ds_store_b128 v18, v[48:51]
	scratch_store_b32 off, v18, off offset:240 ; 4-byte Folded Spill
	ds_store_b128 v18, v[80:83] offset:16
	ds_store_b128 v17, v[52:55]
	scratch_store_b32 off, v17, off offset:232 ; 4-byte Folded Spill
	ds_store_b128 v17, v[56:59] offset:16
	ds_store_b128 v171, v[64:67] offset:14976
	s_clause 0x1
	scratch_store_b32 off, v25, off offset:252
	scratch_store_b32 off, v26, off offset:296
	ds_store_b128 v25, v[60:63] offset:16
	scratch_store_b32 off, v27, off offset:308 ; 4-byte Folded Spill
	ds_store_b128 v27, v[68:71] offset:18720
	ds_store_b128 v26, v[72:75] offset:16
	global_wb scope:SCOPE_SE
	s_wait_storecnt_dscnt 0x0
	s_wait_kmcnt 0x0
	s_barrier_signal -1
	s_barrier_wait -1
	global_inv scope:SCOPE_SE
	s_clause 0x3
	global_load_b128 v[56:59], v11, s[10:11]
	global_load_b128 v[52:55], v12, s[10:11]
	;; [unrolled: 1-line block ×3, first 2 shown]
	global_load_b64 v[39:40], v12, s[10:11] offset:8
	v_lshlrev_b32_e32 v3, 4, v38
	global_load_b64 v[43:44], v3, s[10:11]
	ds_load_b128 v[3:6], v255 offset:11232
	ds_load_b128 v[7:10], v255 offset:13104
	ds_load_b128 v[11:14], v255 offset:14976
	ds_load_b128 v[15:18], v255 offset:16848
	ds_load_b128 v[48:51], v255 offset:18720
	ds_load_b128 v[64:67], v255 offset:20592
	s_wait_loadcnt_dscnt 0x304
	v_mul_f64_e32 v[28:29], v[9:10], v[54:55]
	v_mul_f64_e32 v[24:25], v[5:6], v[58:59]
	;; [unrolled: 1-line block ×4, first 2 shown]
	s_wait_dscnt 0x3
	v_mul_f64_e32 v[32:33], v[13:14], v[58:59]
	v_mul_f64_e32 v[34:35], v[11:12], v[58:59]
	s_wait_loadcnt_dscnt 0x202
	v_mul_f64_e32 v[68:69], v[17:18], v[62:63]
	v_mul_f64_e32 v[70:71], v[15:16], v[62:63]
	s_wait_dscnt 0x1
	v_mul_f64_e32 v[72:73], v[50:51], v[58:59]
	v_mul_f64_e32 v[74:75], v[48:49], v[58:59]
	s_wait_loadcnt_dscnt 0x100
	v_mul_f64_e32 v[76:77], v[66:67], v[39:40]
	v_mul_f64_e32 v[78:79], v[64:65], v[39:40]
	scratch_store_b64 off, v[39:40], off offset:216 ; 8-byte Folded Spill
	s_wait_loadcnt 0x0
	scratch_store_b64 off, v[43:44], off offset:300 ; 8-byte Folded Spill
	v_and_b32_e32 v39, 3, v214
	v_and_b32_e32 v40, 3, v193
	v_fma_f64 v[28:29], v[7:8], v[43:44], -v[28:29]
	v_fma_f64 v[24:25], v[3:4], v[56:57], -v[24:25]
	v_fma_f64 v[26:27], v[5:6], v[56:57], v[26:27]
	v_fma_f64 v[30:31], v[9:10], v[43:44], v[30:31]
	v_fma_f64 v[32:33], v[11:12], v[56:57], -v[32:33]
	v_fma_f64 v[34:35], v[13:14], v[56:57], v[34:35]
	v_fma_f64 v[80:81], v[15:16], v[60:61], -v[68:69]
	;; [unrolled: 2-line block ×4, first 2 shown]
	v_fma_f64 v[90:91], v[66:67], v[52:53], v[78:79]
	ds_load_b128 v[3:6], v255
	ds_load_b128 v[7:10], v255 offset:1872
	ds_load_b128 v[11:14], v255 offset:3744
	;; [unrolled: 1-line block ×5, first 2 shown]
	global_wb scope:SCOPE_SE
	s_wait_storecnt_dscnt 0x0
	s_barrier_signal -1
	s_barrier_wait -1
	global_inv scope:SCOPE_SE
	v_add_f64_e64 v[72:73], v[7:8], -v[28:29]
	v_add_f64_e64 v[68:69], v[3:4], -v[24:25]
	;; [unrolled: 1-line block ×12, first 2 shown]
	v_lshlrev_b32_e32 v24, 1, v20
	v_lshlrev_b32_e32 v25, 1, v23
	;; [unrolled: 1-line block ×3, first 2 shown]
	v_and_or_b32 v1, 0x1fc, v194, v38
	v_lshlrev_b32_e32 v26, 5, v39
	v_and_or_b32 v24, 0x3fc, v24, v19
	v_and_or_b32 v25, 0x3fc, v25, v37
	;; [unrolled: 1-line block ×3, first 2 shown]
	v_lshlrev_b32_e32 v28, 4, v1
	v_lshlrev_b32_e32 v1, 4, v2
	;; [unrolled: 1-line block ×5, first 2 shown]
	scratch_store_b32 off, v29, off offset:276 ; 4-byte Folded Spill
	v_lshlrev_b32_e32 v21, 5, v40
	v_fma_f64 v[7:8], v[7:8], 2.0, -v[72:73]
	v_fma_f64 v[3:4], v[3:4], 2.0, -v[68:69]
	;; [unrolled: 1-line block ×12, first 2 shown]
	ds_store_b128 v29, v[3:6]
	ds_store_b128 v29, v[68:71] offset:32
	ds_store_b128 v28, v[7:10]
	scratch_store_b32 off, v28, off offset:272 ; 4-byte Folded Spill
	ds_store_b128 v28, v[72:75] offset:32
	ds_store_b128 v27, v[11:14]
	scratch_store_b32 off, v27, off offset:268 ; 4-byte Folded Spill
	ds_store_b128 v27, v[76:79] offset:32
	ds_store_b128 v24, v[15:18]
	scratch_store_b32 off, v24, off offset:264 ; 4-byte Folded Spill
	ds_store_b128 v24, v[80:83] offset:32
	ds_store_b128 v19, v[48:51]
	scratch_store_b32 off, v19, off offset:260 ; 4-byte Folded Spill
	ds_store_b128 v19, v[84:87] offset:32
	ds_store_b128 v1, v[64:67]
	v_and_b32_e32 v19, 3, v23
	scratch_store_b32 off, v1, off offset:256 ; 4-byte Folded Spill
	ds_store_b128 v1, v[88:91] offset:32
	v_lshlrev_b32_e32 v1, 5, v41
	global_wb scope:SCOPE_SE
	s_wait_storecnt_dscnt 0x0
	v_lshlrev_b32_e32 v2, 5, v19
	s_barrier_signal -1
	s_barrier_wait -1
	global_inv scope:SCOPE_SE
	s_clause 0x7
	global_load_b128 v[80:83], v26, s[10:11] offset:32
	global_load_b128 v[64:67], v26, s[10:11] offset:48
	;; [unrolled: 1-line block ×8, first 2 shown]
	ds_load_b128 v[1:4], v255 offset:7488
	ds_load_b128 v[5:8], v255 offset:14976
	;; [unrolled: 1-line block ×8, first 2 shown]
	s_wait_loadcnt_dscnt 0x707
	v_mul_f64_e32 v[17:18], v[3:4], v[82:83]
	v_mul_f64_e32 v[24:25], v[1:2], v[82:83]
	s_wait_loadcnt_dscnt 0x606
	v_mul_f64_e32 v[26:27], v[7:8], v[66:67]
	v_mul_f64_e32 v[28:29], v[5:6], v[66:67]
	;; [unrolled: 3-line block ×8, first 2 shown]
	v_fma_f64 v[17:18], v[1:2], v[80:81], -v[17:18]
	v_fma_f64 v[24:25], v[3:4], v[80:81], v[24:25]
	v_fma_f64 v[26:27], v[5:6], v[64:65], -v[26:27]
	v_fma_f64 v[28:29], v[7:8], v[64:65], v[28:29]
	;; [unrolled: 2-line block ×8, first 2 shown]
	ds_load_b128 v[1:4], v255
	ds_load_b128 v[5:8], v255 offset:1872
	ds_load_b128 v[9:12], v255 offset:3744
	;; [unrolled: 1-line block ×3, first 2 shown]
	global_wb scope:SCOPE_SE
	s_wait_dscnt 0x0
	s_barrier_signal -1
	s_barrier_wait -1
	global_inv scope:SCOPE_SE
	v_add_f64_e32 v[126:127], v[1:2], v[17:18]
	v_add_f64_e32 v[110:111], v[17:18], v[26:27]
	;; [unrolled: 1-line block ×3, first 2 shown]
	v_add_f64_e64 v[128:129], v[24:25], -v[28:29]
	v_add_f64_e32 v[24:25], v[3:4], v[24:25]
	v_add_f64_e32 v[114:115], v[30:31], v[34:35]
	;; [unrolled: 1-line block ×13, first 2 shown]
	v_add_f64_e64 v[17:18], v[17:18], -v[26:27]
	v_add_f64_e64 v[32:33], v[32:33], -v[108:109]
	;; [unrolled: 1-line block ×7, first 2 shown]
	v_add_f64_e32 v[140:141], v[126:127], v[26:27]
	v_fma_f64 v[1:2], v[110:111], -0.5, v[1:2]
	v_fma_f64 v[3:4], v[112:113], -0.5, v[3:4]
	v_add_f64_e32 v[142:143], v[24:25], v[28:29]
	v_fma_f64 v[5:6], v[114:115], -0.5, v[5:6]
	v_fma_f64 v[7:8], v[116:117], -0.5, v[7:8]
	v_add_f64_e32 v[112:113], v[130:131], v[34:35]
	v_add_f64_e32 v[114:115], v[132:133], v[108:109]
	v_fma_f64 v[9:10], v[118:119], -0.5, v[9:10]
	v_fma_f64 v[11:12], v[120:121], -0.5, v[11:12]
	v_add_f64_e32 v[144:145], v[134:135], v[96:97]
	v_add_f64_e32 v[146:147], v[136:137], v[98:99]
	v_fma_f64 v[13:14], v[122:123], -0.5, v[13:14]
	v_fma_f64 v[15:16], v[124:125], -0.5, v[15:16]
	v_add_f64_e32 v[132:133], v[138:139], v[104:105]
	v_add_f64_e32 v[134:135], v[148:149], v[106:107]
                                        ; implicit-def: $vgpr120_vgpr121
	v_fma_f64 v[96:97], v[128:129], s[0:1], v[1:2]
	s_wait_alu 0xfffe
	v_fma_f64 v[108:109], v[128:129], s[12:13], v[1:2]
	v_fma_f64 v[98:99], v[17:18], s[12:13], v[3:4]
	;; [unrolled: 1-line block ×15, first 2 shown]
	v_lshrrev_b32_e32 v3, 2, v214
	v_lshrrev_b32_e32 v4, 2, v193
	;; [unrolled: 1-line block ×4, first 2 shown]
	v_add_co_u32 v231, s0, s8, v255
	v_mul_u32_u24_e32 v1, 12, v3
	v_mul_u32_u24_e32 v2, 12, v4
	;; [unrolled: 1-line block ×4, first 2 shown]
	s_wait_alu 0xf1ff
	v_add_co_ci_u32_e64 v232, null, s9, 0, s0
	v_or_b32_e32 v0, v1, v39
	v_or_b32_e32 v1, v2, v40
	;; [unrolled: 1-line block ×4, first 2 shown]
	s_delay_alu instid0(VALU_DEP_4) | instskip(NEXT) | instid1(VALU_DEP_4)
	v_lshlrev_b32_e32 v212, 4, v0
	v_lshlrev_b32_e32 v213, 4, v1
	s_delay_alu instid0(VALU_DEP_4) | instskip(NEXT) | instid1(VALU_DEP_4)
	v_lshlrev_b32_e32 v215, 4, v2
	v_lshlrev_b32_e32 v216, 4, v3
	ds_store_b128 v212, v[140:143]
	ds_store_b128 v212, v[96:99] offset:64
	ds_store_b128 v212, v[108:111] offset:128
	ds_store_b128 v213, v[112:115]
	ds_store_b128 v213, v[124:127] offset:64
	ds_store_b128 v213, v[128:131] offset:128
	;; [unrolled: 3-line block ×4, first 2 shown]
	global_wb scope:SCOPE_SE
	s_wait_dscnt 0x0
	s_barrier_signal -1
	s_barrier_wait -1
	global_inv scope:SCOPE_SE
	s_and_saveexec_b32 s0, vcc_lo
	s_cbranch_execz .LBB0_3
; %bb.2:
	ds_load_b128 v[140:143], v255
	ds_load_b128 v[96:99], v255 offset:1728
	ds_load_b128 v[108:111], v255 offset:3456
	;; [unrolled: 1-line block ×12, first 2 shown]
.LBB0_3:
	s_wait_alu 0xfffe
	s_or_b32 exec_lo, exec_lo, s0
	v_and_b32_e32 v0, 0xff, v214
	s_mov_b32 s14, 0x4267c47c
	s_mov_b32 s15, 0xbfddbe06
	;; [unrolled: 1-line block ×4, first 2 shown]
	v_mul_lo_u16 v0, 0xab, v0
	s_mov_b32 s13, 0x3fec55a7
	s_mov_b32 s19, 0xbfea55e2
	;; [unrolled: 1-line block ×4, first 2 shown]
	v_lshrrev_b16 v21, 11, v0
	s_mov_b32 s20, 0x66966769
	s_mov_b32 s21, 0xbfefc445
	;; [unrolled: 1-line block ×4, first 2 shown]
	v_mul_lo_u16 v0, v21, 12
	s_mov_b32 s28, 0x2ef20147
	s_mov_b32 s29, 0xbfedeba7
	;; [unrolled: 1-line block ×4, first 2 shown]
	v_sub_nc_u16 v0, v214, v0
	s_mov_b32 s30, 0x24c2f84
	s_mov_b32 s31, 0xbfe5384d
	;; [unrolled: 1-line block ×4, first 2 shown]
	v_and_b32_e32 v0, 0xff, v0
	s_mov_b32 s34, 0x4bc48dbf
	s_mov_b32 s35, 0xbfcea1e5
	;; [unrolled: 1-line block ×4, first 2 shown]
	scratch_store_b32 off, v0, off offset:228 ; 4-byte Folded Spill
	v_mad_co_u64_u32 v[0:1], null, 0xc0, v0, s[10:11]
	v_and_b32_e32 v21, 0xffff, v21
	s_clause 0x1
	global_load_b128 v[172:175], v[0:1], off offset:160
	global_load_b128 v[100:103], v[0:1], off offset:176
	s_wait_loadcnt_dscnt 0x10b
	v_mul_f64_e32 v[2:3], v[98:99], v[174:175]
	s_delay_alu instid0(VALU_DEP_1) | instskip(SKIP_1) | instid1(VALU_DEP_1)
	v_fma_f64 v[4:5], v[96:97], v[172:173], -v[2:3]
	v_mul_f64_e32 v[2:3], v[96:97], v[174:175]
	v_fma_f64 v[6:7], v[98:99], v[172:173], v[2:3]
	s_clause 0x1
	global_load_b128 v[96:99], v[0:1], off offset:336
	global_load_b128 v[104:107], v[0:1], off offset:320
	s_wait_loadcnt_dscnt 0x100
	v_mul_f64_e32 v[2:3], v[120:121], v[98:99]
	s_delay_alu instid0(VALU_DEP_1) | instskip(SKIP_1) | instid1(VALU_DEP_2)
	v_fma_f64 v[32:33], v[122:123], v[96:97], v[2:3]
	v_mul_f64_e32 v[2:3], v[122:123], v[98:99]
	v_add_f64_e64 v[12:13], v[6:7], -v[32:33]
	s_delay_alu instid0(VALU_DEP_2) | instskip(SKIP_3) | instid1(VALU_DEP_4)
	v_fma_f64 v[34:35], v[120:121], v[96:97], -v[2:3]
	v_mul_f64_e32 v[2:3], v[110:111], v[102:103]
	v_add_f64_e32 v[16:17], v[6:7], v[32:33]
	s_wait_alu 0xfffe
	v_mul_f64_e32 v[8:9], s[14:15], v[12:13]
	s_delay_alu instid0(VALU_DEP_4) | instskip(NEXT) | instid1(VALU_DEP_4)
	v_add_f64_e32 v[10:11], v[4:5], v[34:35]
	v_fma_f64 v[40:41], v[108:109], v[100:101], -v[2:3]
	v_mul_f64_e32 v[2:3], v[108:109], v[102:103]
	v_add_f64_e64 v[18:19], v[4:5], -v[34:35]
	s_delay_alu instid0(VALU_DEP_2) | instskip(SKIP_2) | instid1(VALU_DEP_3)
	v_fma_f64 v[43:44], v[110:111], v[100:101], v[2:3]
	s_wait_loadcnt 0x0
	v_mul_f64_e32 v[2:3], v[116:117], v[106:107]
	v_mul_f64_e32 v[14:15], s[14:15], v[18:19]
	s_delay_alu instid0(VALU_DEP_2) | instskip(SKIP_1) | instid1(VALU_DEP_2)
	v_fma_f64 v[36:37], v[118:119], v[104:105], v[2:3]
	v_mul_f64_e32 v[2:3], v[118:119], v[106:107]
	v_add_f64_e64 v[221:222], v[43:44], -v[36:37]
	s_delay_alu instid0(VALU_DEP_2)
	v_fma_f64 v[38:39], v[116:117], v[104:105], -v[2:3]
	s_clause 0x1
	global_load_b128 v[108:111], v[0:1], off offset:192
	global_load_b128 v[116:119], v[0:1], off offset:208
	v_mul_f64_e32 v[49:50], s[18:19], v[221:222]
	v_add_f64_e64 v[204:205], v[40:41], -v[38:39]
	s_wait_loadcnt 0x1
	v_mul_f64_e32 v[2:3], v[114:115], v[110:111]
	s_delay_alu instid0(VALU_DEP_1) | instskip(SKIP_1) | instid1(VALU_DEP_1)
	v_fma_f64 v[45:46], v[112:113], v[108:109], -v[2:3]
	v_mul_f64_e32 v[2:3], v[112:113], v[110:111]
	v_fma_f64 v[156:157], v[114:115], v[108:109], v[2:3]
	s_clause 0x1
	global_load_b128 v[112:115], v[0:1], off offset:304
	global_load_b128 v[120:123], v[0:1], off offset:288
	s_wait_loadcnt 0x1
	v_mul_f64_e32 v[2:3], v[138:139], v[114:115]
	s_delay_alu instid0(VALU_DEP_1) | instskip(SKIP_1) | instid1(VALU_DEP_2)
	v_fma_f64 v[158:159], v[136:137], v[112:113], -v[2:3]
	v_mul_f64_e32 v[2:3], v[136:137], v[114:115]
	v_add_f64_e32 v[200:201], v[45:46], v[158:159]
	s_delay_alu instid0(VALU_DEP_2) | instskip(SKIP_2) | instid1(VALU_DEP_3)
	v_fma_f64 v[160:161], v[138:139], v[112:113], v[2:3]
	v_mul_f64_e32 v[2:3], v[126:127], v[118:119]
	v_add_f64_e64 v[223:224], v[45:46], -v[158:159]
	v_add_f64_e64 v[247:248], v[156:157], -v[160:161]
	s_delay_alu instid0(VALU_DEP_3) | instskip(SKIP_4) | instid1(VALU_DEP_4)
	v_fma_f64 v[229:230], v[124:125], v[116:117], -v[2:3]
	v_mul_f64_e32 v[2:3], v[124:125], v[118:119]
	v_add_f64_e32 v[219:220], v[156:157], v[160:161]
	v_mul_f64_e32 v[186:187], s[20:21], v[223:224]
	v_mul_f64_e32 v[182:183], s[20:21], v[247:248]
	v_fma_f64 v[168:169], v[126:127], v[116:117], v[2:3]
	s_wait_loadcnt 0x0
	v_mul_f64_e32 v[2:3], v[134:135], v[122:123]
	s_delay_alu instid0(VALU_DEP_1) | instskip(SKIP_1) | instid1(VALU_DEP_2)
	v_fma_f64 v[162:163], v[132:133], v[120:121], -v[2:3]
	v_mul_f64_e32 v[2:3], v[132:133], v[122:123]
	v_add_f64_e32 v[206:207], v[229:230], v[162:163]
	s_delay_alu instid0(VALU_DEP_2)
	v_fma_f64 v[164:165], v[134:135], v[120:121], v[2:3]
	s_clause 0x1
	global_load_b128 v[124:127], v[0:1], off offset:224
	global_load_b128 v[132:135], v[0:1], off offset:240
	v_add_f64_e64 v[245:246], v[229:230], -v[162:163]
	v_add_f64_e64 v[253:254], v[168:169], -v[164:165]
	v_add_f64_e32 v[196:197], v[168:169], v[164:165]
	s_delay_alu instid0(VALU_DEP_2) | instskip(SKIP_2) | instid1(VALU_DEP_1)
	v_mul_f64_e32 v[184:185], s[28:29], v[253:254]
	s_wait_loadcnt 0x1
	v_mul_f64_e32 v[2:3], v[130:131], v[126:127]
	v_fma_f64 v[176:177], v[128:129], v[124:125], -v[2:3]
	v_mul_f64_e32 v[2:3], v[128:129], v[126:127]
	s_delay_alu instid0(VALU_DEP_1)
	v_fma_f64 v[178:179], v[130:131], v[124:125], v[2:3]
	s_clause 0x1
	global_load_b128 v[128:131], v[0:1], off offset:272
	global_load_b128 v[136:139], v[0:1], off offset:256
	scratch_store_b32 off, v21, off offset:224 ; 4-byte Folded Spill
	s_wait_loadcnt 0x1
	v_mul_f64_e32 v[0:1], v[154:155], v[130:131]
	s_delay_alu instid0(VALU_DEP_1) | instskip(SKIP_1) | instid1(VALU_DEP_2)
	v_fma_f64 v[180:181], v[152:153], v[128:129], -v[0:1]
	v_mul_f64_e32 v[0:1], v[152:153], v[130:131]
	v_add_f64_e32 v[225:226], v[176:177], v[180:181]
	s_delay_alu instid0(VALU_DEP_2) | instskip(SKIP_3) | instid1(VALU_DEP_4)
	v_fma_f64 v[152:153], v[154:155], v[128:129], v[0:1]
	v_mul_f64_e32 v[0:1], v[146:147], v[134:135]
	v_add_f64_e32 v[154:155], v[43:44], v[36:37]
	v_add_f64_e64 v[249:250], v[176:177], -v[180:181]
	v_add_f64_e32 v[237:238], v[178:179], v[152:153]
	s_delay_alu instid0(VALU_DEP_4) | instskip(SKIP_3) | instid1(VALU_DEP_3)
	v_fma_f64 v[217:218], v[144:145], v[132:133], -v[0:1]
	v_mul_f64_e32 v[0:1], v[144:145], v[134:135]
	v_mul_f64_e32 v[144:145], s[28:29], v[245:246]
	;; [unrolled: 1-line block ×3, first 2 shown]
	v_fma_f64 v[47:48], v[146:147], v[132:133], v[0:1]
	s_wait_loadcnt 0x0
	v_mul_f64_e32 v[0:1], v[150:151], v[138:139]
	s_delay_alu instid0(VALU_DEP_1) | instskip(SKIP_2) | instid1(VALU_DEP_3)
	v_fma_f64 v[189:190], v[148:149], v[136:137], -v[0:1]
	v_mul_f64_e32 v[0:1], v[148:149], v[138:139]
	v_mul_f64_e32 v[148:149], s[18:19], v[204:205]
	v_add_f64_e32 v[233:234], v[217:218], v[189:190]
	s_delay_alu instid0(VALU_DEP_3)
	v_fma_f64 v[146:147], v[150:151], v[136:137], v[0:1]
	v_fma_f64 v[0:1], v[10:11], s[12:13], v[8:9]
	v_add_f64_e32 v[150:151], v[40:41], v[38:39]
	v_fma_f64 v[24:25], v[154:155], s[0:1], -v[148:149]
	v_add_f64_e64 v[251:252], v[217:218], -v[189:190]
	v_add_f64_e32 v[241:242], v[47:48], v[146:147]
	v_add_f64_e32 v[0:1], v[140:141], v[0:1]
	v_fma_f64 v[2:3], v[150:151], s[0:1], v[49:50]
	s_delay_alu instid0(VALU_DEP_4) | instskip(NEXT) | instid1(VALU_DEP_2)
	v_mul_f64_e32 v[208:209], s[34:35], v[251:252]
	v_add_f64_e32 v[0:1], v[2:3], v[0:1]
	v_fma_f64 v[2:3], v[16:17], s[12:13], -v[14:15]
	s_delay_alu instid0(VALU_DEP_1) | instskip(NEXT) | instid1(VALU_DEP_1)
	v_add_f64_e32 v[2:3], v[142:143], v[2:3]
	v_add_f64_e32 v[2:3], v[24:25], v[2:3]
	v_fma_f64 v[24:25], v[200:201], s[16:17], v[182:183]
	s_delay_alu instid0(VALU_DEP_1) | instskip(SKIP_1) | instid1(VALU_DEP_1)
	v_add_f64_e32 v[0:1], v[24:25], v[0:1]
	v_fma_f64 v[24:25], v[219:220], s[16:17], -v[186:187]
	v_add_f64_e32 v[2:3], v[24:25], v[2:3]
	v_fma_f64 v[24:25], v[206:207], s[22:23], v[184:185]
	s_delay_alu instid0(VALU_DEP_1) | instskip(SKIP_1) | instid1(VALU_DEP_1)
	v_add_f64_e32 v[24:25], v[24:25], v[0:1]
	v_fma_f64 v[0:1], v[196:197], s[22:23], -v[144:145]
	v_add_f64_e32 v[2:3], v[0:1], v[2:3]
	v_add_f64_e64 v[0:1], v[178:179], -v[152:153]
	s_delay_alu instid0(VALU_DEP_1) | instskip(NEXT) | instid1(VALU_DEP_1)
	v_mul_f64_e32 v[191:192], s[30:31], v[0:1]
	v_fma_f64 v[26:27], v[225:226], s[24:25], v[191:192]
	s_delay_alu instid0(VALU_DEP_1) | instskip(SKIP_1) | instid1(VALU_DEP_1)
	v_add_f64_e32 v[24:25], v[26:27], v[24:25]
	v_fma_f64 v[26:27], v[237:238], s[24:25], -v[202:203]
	v_add_f64_e32 v[26:27], v[26:27], v[2:3]
	v_add_f64_e64 v[2:3], v[47:48], -v[146:147]
	s_delay_alu instid0(VALU_DEP_1) | instskip(NEXT) | instid1(VALU_DEP_1)
	v_mul_f64_e32 v[198:199], s[34:35], v[2:3]
	v_fma_f64 v[28:29], v[233:234], s[26:27], v[198:199]
	s_delay_alu instid0(VALU_DEP_1) | instskip(SKIP_1) | instid1(VALU_DEP_1)
	v_add_f64_e32 v[28:29], v[28:29], v[24:25]
	v_fma_f64 v[24:25], v[241:242], s[26:27], -v[208:209]
	v_add_f64_e32 v[30:31], v[24:25], v[26:27]
	scratch_store_b128 off, v[28:31], off   ; 16-byte Folded Spill
	global_wb scope:SCOPE_SE
	s_wait_storecnt 0x0
	s_barrier_signal -1
	s_barrier_wait -1
	global_inv scope:SCOPE_SE
	s_and_saveexec_b32 s33, vcc_lo
	s_cbranch_execz .LBB0_5
; %bb.4:
	s_clause 0x1
	scratch_store_b64 off, v[208:209], off offset:360
	scratch_store_b64 off, v[40:41], off offset:376
	v_mul_f64_e32 v[40:41], s[28:29], v[12:13]
	s_clause 0x6
	scratch_store_b64 off, v[32:33], off offset:320
	scratch_store_b64 off, v[34:35], off offset:328
	;; [unrolled: 1-line block ×7, first 2 shown]
	v_mul_f64_e32 v[42:43], s[20:21], v[12:13]
	v_mul_f64_e32 v[24:25], s[26:27], v[16:17]
	;; [unrolled: 1-line block ×7, first 2 shown]
	scratch_store_b64 off, v[45:46], off offset:384 ; 8-byte Folded Spill
	v_add_f64_e32 v[6:7], v[142:143], v[6:7]
	scratch_store_b64 off, v[198:199], off offset:400 ; 8-byte Folded Spill
	s_mov_b32 s37, 0x3fedeba7
	s_mov_b32 s36, s28
	;; [unrolled: 1-line block ×10, first 2 shown]
	scratch_store_b64 off, v[47:48], off offset:368 ; 8-byte Folded Spill
	v_add_f64_e32 v[4:5], v[140:141], v[4:5]
	s_mov_b32 s47, 0x3fddbe06
	s_mov_b32 s46, s14
	v_mul_f64_e32 v[227:228], s[16:17], v[241:242]
	v_mul_f64_e32 v[235:236], s[44:45], v[0:1]
	;; [unrolled: 1-line block ×5, first 2 shown]
	v_dual_mov_b32 v181, v159 :: v_dual_mov_b32 v180, v158
	v_mul_f64_e32 v[158:159], s[12:13], v[196:197]
	v_fma_f64 v[194:195], v[10:11], s[22:23], v[40:41]
	v_fma_f64 v[40:41], v[10:11], s[22:23], -v[40:41]
	v_dual_mov_b32 v185, v161 :: v_dual_mov_b32 v184, v160
	v_mul_f64_e32 v[160:161], s[46:47], v[253:254]
	v_fma_f64 v[198:199], v[10:11], s[16:17], v[42:43]
	v_fma_f64 v[26:27], v[18:19], s[38:39], v[24:25]
	;; [unrolled: 1-line block ×11, first 2 shown]
	v_add_f64_e32 v[14:15], v[14:15], v[16:17]
	v_mul_f64_e32 v[16:17], s[34:35], v[12:13]
	v_mul_f64_e32 v[208:209], s[30:31], v[12:13]
	;; [unrolled: 1-line block ×3, first 2 shown]
	v_fma_f64 v[42:43], v[10:11], s[16:17], -v[42:43]
	s_clause 0x1
	scratch_store_b64 off, v[6:7], off offset:408
	scratch_store_b64 off, v[4:5], off offset:416
	v_add_f64_e32 v[21:22], v[140:141], v[194:195]
	v_add_f64_e32 v[40:41], v[140:141], v[40:41]
	;; [unrolled: 1-line block ×8, first 2 shown]
	v_fma_f64 v[44:45], v[10:11], s[26:27], v[16:17]
	v_fma_f64 v[16:17], v[10:11], s[26:27], -v[16:17]
	v_fma_f64 v[46:47], v[10:11], s[24:25], v[208:209]
	v_fma_f64 v[208:209], v[10:11], s[24:25], -v[208:209]
	v_add_f64_e32 v[42:43], v[140:141], v[42:43]
	scratch_store_b64 off, v[21:22], off offset:480 ; 8-byte Folded Spill
	v_add_f64_e32 v[21:22], v[140:141], v[198:199]
	v_add_f64_e32 v[6:7], v[140:141], v[44:45]
	;; [unrolled: 1-line block ×4, first 2 shown]
	v_dual_mov_b32 v44, v49 :: v_dual_mov_b32 v45, v50
	v_dual_mov_b32 v48, v178 :: v_dual_mov_b32 v49, v179
	;; [unrolled: 1-line block ×3, first 2 shown]
	v_mul_f64_e32 v[231:232], s[44:45], v[2:3]
	scratch_store_b64 off, v[21:22], off offset:472 ; 8-byte Folded Spill
	v_add_f64_e32 v[21:22], v[142:143], v[210:211]
	scratch_store_b64 off, v[202:203], off offset:432 ; 8-byte Folded Spill
	v_fma_f64 v[202:203], v[10:11], s[0:1], v[12:13]
	v_fma_f64 v[12:13], v[10:11], s[0:1], -v[12:13]
	v_mul_f64_e32 v[10:11], s[12:13], v[10:11]
	scratch_store_b64 off, v[21:22], off offset:464 ; 8-byte Folded Spill
	v_add_f64_e32 v[21:22], v[140:141], v[202:203]
	v_add_f64_e32 v[202:203], v[142:143], v[18:19]
	v_add_f64_e64 v[8:9], v[10:11], -v[8:9]
	v_add_f64_e32 v[10:11], v[142:143], v[24:25]
	v_add_f64_e32 v[24:25], v[142:143], v[30:31]
	;; [unrolled: 1-line block ×6, first 2 shown]
	s_clause 0x1
	scratch_store_b64 off, v[12:13], off offset:440
	scratch_store_b64 off, v[21:22], off offset:456
	v_mov_b32_e32 v22, v20
	v_dual_mov_b32 v20, v219 :: v_dual_mov_b32 v21, v220
	scratch_store_b64 off, v[8:9], off offset:448 ; 8-byte Folded Spill
	v_mul_f64_e32 v[8:9], s[12:13], v[154:155]
	s_clause 0x3
	scratch_store_b32 off, v214, off offset:280
	scratch_store_b32 off, v213, off offset:312
	scratch_store_b32 off, v215, off offset:316
	scratch_store_b64 off, v[148:149], off offset:504
	v_mov_b32_e32 v214, v216
	s_clause 0x1
	scratch_store_b64 off, v[217:218], off offset:488
	scratch_store_b64 off, v[176:177], off offset:496
	v_mov_b32_e32 v176, v212
	v_mul_f64_e32 v[212:213], s[26:27], v[154:155]
	v_dual_mov_b32 v148, v156 :: v_dual_mov_b32 v149, v157
	v_mul_f64_e32 v[156:157], s[36:37], v[247:248]
	v_dual_mov_b32 v218, v163 :: v_dual_mov_b32 v217, v162
	v_mul_f64_e32 v[162:163], s[0:1], v[237:238]
	scratch_store_b64 off, v[189:190], off offset:512 ; 8-byte Folded Spill
	v_dual_mov_b32 v190, v165 :: v_dual_mov_b32 v177, v171
	v_mov_b32_e32 v189, v164
	v_mul_f64_e32 v[164:165], s[18:19], v[0:1]
	v_dual_mov_b32 v50, v152 :: v_dual_mov_b32 v51, v153
	v_dual_mov_b32 v152, v168 :: v_dual_mov_b32 v153, v169
	v_mul_f64_e32 v[168:169], s[30:31], v[2:3]
	v_mul_f64_e32 v[170:171], s[0:1], v[241:242]
	v_fma_f64 v[12:13], v[204:205], s[14:15], v[8:9]
	v_fma_f64 v[8:9], v[204:205], s[46:47], v[8:9]
	s_delay_alu instid0(VALU_DEP_2) | instskip(SKIP_1) | instid1(VALU_DEP_3)
	v_add_f64_e32 v[4:5], v[12:13], v[4:5]
	v_mul_f64_e32 v[12:13], s[46:47], v[221:222]
	v_add_f64_e32 v[8:9], v[8:9], v[10:11]
	s_delay_alu instid0(VALU_DEP_2) | instskip(SKIP_1) | instid1(VALU_DEP_2)
	v_fma_f64 v[14:15], v[150:151], s[12:13], v[12:13]
	v_fma_f64 v[10:11], v[150:151], s[12:13], -v[12:13]
	v_add_f64_e32 v[6:7], v[14:15], v[6:7]
	v_mul_f64_e32 v[14:15], s[24:25], v[219:220]
	s_delay_alu instid0(VALU_DEP_3) | instskip(SKIP_1) | instid1(VALU_DEP_3)
	v_add_f64_e32 v[10:11], v[10:11], v[16:17]
	v_mul_f64_e32 v[16:17], s[16:17], v[154:155]
	v_fma_f64 v[18:19], v[223:224], s[40:41], v[14:15]
	v_fma_f64 v[12:13], v[223:224], s[30:31], v[14:15]
	v_fma_f64 v[14:15], v[233:234], s[16:17], -v[231:232]
	s_delay_alu instid0(VALU_DEP_3) | instskip(SKIP_1) | instid1(VALU_DEP_4)
	v_add_f64_e32 v[4:5], v[18:19], v[4:5]
	v_mul_f64_e32 v[18:19], s[30:31], v[247:248]
	v_add_f64_e32 v[8:9], v[12:13], v[8:9]
	s_delay_alu instid0(VALU_DEP_2) | instskip(SKIP_2) | instid1(VALU_DEP_3)
	v_fma_f64 v[140:141], v[200:201], s[24:25], v[18:19]
	v_fma_f64 v[12:13], v[200:201], s[24:25], -v[18:19]
	v_mul_f64_e32 v[18:19], s[44:45], v[221:222]
	v_add_f64_e32 v[6:7], v[140:141], v[6:7]
	v_mul_f64_e32 v[140:141], s[0:1], v[196:197]
	s_delay_alu instid0(VALU_DEP_4) | instskip(NEXT) | instid1(VALU_DEP_2)
	v_add_f64_e32 v[10:11], v[12:13], v[10:11]
	v_fma_f64 v[142:143], v[245:246], s[18:19], v[140:141]
	v_fma_f64 v[12:13], v[245:246], s[42:43], v[140:141]
	s_delay_alu instid0(VALU_DEP_2) | instskip(SKIP_1) | instid1(VALU_DEP_3)
	v_add_f64_e32 v[4:5], v[142:143], v[4:5]
	v_mul_f64_e32 v[142:143], s[42:43], v[253:254]
	v_add_f64_e32 v[8:9], v[12:13], v[8:9]
	s_delay_alu instid0(VALU_DEP_2) | instskip(SKIP_1) | instid1(VALU_DEP_2)
	v_fma_f64 v[210:211], v[206:207], s[0:1], v[142:143]
	v_fma_f64 v[12:13], v[206:207], s[0:1], -v[142:143]
	v_add_f64_e32 v[6:7], v[210:211], v[6:7]
	v_mul_f64_e32 v[210:211], s[22:23], v[237:238]
	s_delay_alu instid0(VALU_DEP_3) | instskip(NEXT) | instid1(VALU_DEP_2)
	v_add_f64_e32 v[10:11], v[12:13], v[10:11]
	v_fma_f64 v[215:216], v[249:250], s[36:37], v[210:211]
	v_fma_f64 v[12:13], v[249:250], s[28:29], v[210:211]
	s_delay_alu instid0(VALU_DEP_2) | instskip(SKIP_1) | instid1(VALU_DEP_3)
	v_add_f64_e32 v[4:5], v[215:216], v[4:5]
	v_mul_f64_e32 v[215:216], s[28:29], v[0:1]
	v_add_f64_e32 v[8:9], v[12:13], v[8:9]
	s_delay_alu instid0(VALU_DEP_2) | instskip(SKIP_1) | instid1(VALU_DEP_2)
	v_fma_f64 v[12:13], v[225:226], s[22:23], -v[215:216]
	v_fma_f64 v[219:220], v[225:226], s[22:23], v[215:216]
	v_add_f64_e32 v[12:13], v[12:13], v[10:11]
	v_fma_f64 v[10:11], v[251:252], s[44:45], v[227:228]
	s_delay_alu instid0(VALU_DEP_3) | instskip(SKIP_2) | instid1(VALU_DEP_4)
	v_add_f64_e32 v[219:220], v[219:220], v[6:7]
	v_fma_f64 v[6:7], v[251:252], s[20:21], v[227:228]
	v_mul_f64_e32 v[227:228], s[22:23], v[241:242]
	v_add_f64_e32 v[10:11], v[10:11], v[8:9]
	v_add_f64_e32 v[8:9], v[14:15], v[12:13]
	v_fma_f64 v[12:13], v[204:205], s[20:21], v[16:17]
	v_fma_f64 v[14:15], v[150:151], s[16:17], v[18:19]
	v_fma_f64 v[16:17], v[204:205], s[44:45], v[16:17]
	v_fma_f64 v[18:19], v[150:151], s[16:17], -v[18:19]
	v_add_f64_e32 v[6:7], v[6:7], v[4:5]
	v_fma_f64 v[4:5], v[233:234], s[16:17], v[231:232]
	v_mul_f64_e32 v[231:232], s[28:29], v[2:3]
	v_add_f64_e32 v[12:13], v[12:13], v[24:25]
	v_mul_f64_e32 v[24:25], s[0:1], v[20:21]
	v_add_f64_e32 v[14:15], v[14:15], v[26:27]
	v_add_f64_e32 v[16:17], v[16:17], v[28:29]
	;; [unrolled: 1-line block ×4, first 2 shown]
	v_fma_f64 v[26:27], v[223:224], s[42:43], v[24:25]
	v_fma_f64 v[24:25], v[223:224], s[18:19], v[24:25]
	s_delay_alu instid0(VALU_DEP_2) | instskip(SKIP_1) | instid1(VALU_DEP_3)
	v_add_f64_e32 v[12:13], v[26:27], v[12:13]
	v_mul_f64_e32 v[26:27], s[18:19], v[247:248]
	v_add_f64_e32 v[16:17], v[24:25], v[16:17]
	s_delay_alu instid0(VALU_DEP_2) | instskip(SKIP_2) | instid1(VALU_DEP_3)
	v_fma_f64 v[140:141], v[200:201], s[0:1], v[26:27]
	v_fma_f64 v[24:25], v[200:201], s[0:1], -v[26:27]
	v_fma_f64 v[26:27], v[233:234], s[22:23], -v[231:232]
	v_add_f64_e32 v[14:15], v[140:141], v[14:15]
	v_mul_f64_e32 v[140:141], s[26:27], v[196:197]
	s_delay_alu instid0(VALU_DEP_4) | instskip(NEXT) | instid1(VALU_DEP_2)
	v_add_f64_e32 v[18:19], v[24:25], v[18:19]
	v_fma_f64 v[142:143], v[245:246], s[34:35], v[140:141]
	v_fma_f64 v[24:25], v[245:246], s[38:39], v[140:141]
	s_delay_alu instid0(VALU_DEP_2) | instskip(SKIP_1) | instid1(VALU_DEP_3)
	v_add_f64_e32 v[12:13], v[142:143], v[12:13]
	v_mul_f64_e32 v[142:143], s[38:39], v[253:254]
	v_add_f64_e32 v[16:17], v[24:25], v[16:17]
	s_delay_alu instid0(VALU_DEP_2) | instskip(SKIP_1) | instid1(VALU_DEP_2)
	v_fma_f64 v[210:211], v[206:207], s[26:27], v[142:143]
	v_fma_f64 v[24:25], v[206:207], s[26:27], -v[142:143]
	v_add_f64_e32 v[14:15], v[210:211], v[14:15]
	v_mul_f64_e32 v[210:211], s[12:13], v[237:238]
	s_delay_alu instid0(VALU_DEP_3) | instskip(NEXT) | instid1(VALU_DEP_2)
	v_add_f64_e32 v[18:19], v[24:25], v[18:19]
	v_fma_f64 v[215:216], v[249:250], s[14:15], v[210:211]
	v_fma_f64 v[24:25], v[249:250], s[46:47], v[210:211]
	v_mul_f64_e32 v[210:211], s[22:23], v[154:155]
	s_delay_alu instid0(VALU_DEP_3) | instskip(SKIP_1) | instid1(VALU_DEP_4)
	v_add_f64_e32 v[12:13], v[215:216], v[12:13]
	v_mul_f64_e32 v[215:216], s[46:47], v[0:1]
	v_add_f64_e32 v[16:17], v[24:25], v[16:17]
	s_delay_alu instid0(VALU_DEP_2) | instskip(SKIP_2) | instid1(VALU_DEP_3)
	v_fma_f64 v[24:25], v[225:226], s[12:13], -v[215:216]
	v_fma_f64 v[219:220], v[225:226], s[12:13], v[215:216]
	v_mul_f64_e32 v[215:216], s[34:35], v[247:248]
	v_add_f64_e32 v[24:25], v[24:25], v[18:19]
	v_fma_f64 v[18:19], v[251:252], s[28:29], v[227:228]
	s_delay_alu instid0(VALU_DEP_4) | instskip(SKIP_2) | instid1(VALU_DEP_4)
	v_add_f64_e32 v[219:220], v[219:220], v[14:15]
	v_fma_f64 v[14:15], v[251:252], s[36:37], v[227:228]
	v_mul_f64_e32 v[227:228], s[40:41], v[253:254]
	v_add_f64_e32 v[18:19], v[18:19], v[16:17]
	v_add_f64_e32 v[16:17], v[26:27], v[24:25]
	v_fma_f64 v[24:25], v[204:205], s[28:29], v[210:211]
	v_add_f64_e32 v[14:15], v[14:15], v[12:13]
	v_fma_f64 v[12:13], v[233:234], s[22:23], v[231:232]
	v_mul_f64_e32 v[231:232], s[16:17], v[237:238]
	s_delay_alu instid0(VALU_DEP_4) | instskip(SKIP_1) | instid1(VALU_DEP_4)
	v_add_f64_e32 v[24:25], v[24:25], v[202:203]
	v_mul_f64_e32 v[202:203], s[28:29], v[221:222]
	v_add_f64_e32 v[12:13], v[12:13], v[219:220]
	v_mul_f64_e32 v[219:220], s[24:25], v[196:197]
	s_delay_alu instid0(VALU_DEP_3) | instskip(NEXT) | instid1(VALU_DEP_1)
	v_fma_f64 v[26:27], v[150:151], s[22:23], -v[202:203]
	v_add_f64_e32 v[26:27], v[26:27], v[208:209]
	v_mul_f64_e32 v[208:209], s[26:27], v[20:21]
	s_delay_alu instid0(VALU_DEP_1) | instskip(NEXT) | instid1(VALU_DEP_1)
	v_fma_f64 v[28:29], v[223:224], s[34:35], v[208:209]
	v_add_f64_e32 v[24:25], v[28:29], v[24:25]
	v_fma_f64 v[28:29], v[200:201], s[26:27], -v[215:216]
	s_delay_alu instid0(VALU_DEP_1) | instskip(SKIP_1) | instid1(VALU_DEP_1)
	v_add_f64_e32 v[26:27], v[28:29], v[26:27]
	v_fma_f64 v[28:29], v[245:246], s[40:41], v[219:220]
	v_add_f64_e32 v[24:25], v[28:29], v[24:25]
	v_fma_f64 v[28:29], v[206:207], s[24:25], -v[227:228]
	s_delay_alu instid0(VALU_DEP_1) | instskip(SKIP_1) | instid1(VALU_DEP_1)
	v_add_f64_e32 v[26:27], v[28:29], v[26:27]
	;; [unrolled: 5-line block ×4, first 2 shown]
	v_fma_f64 v[24:25], v[204:205], s[34:35], v[212:213]
	v_add_f64_e32 v[24:25], v[24:25], v[36:37]
	v_mul_f64_e32 v[36:37], s[34:35], v[221:222]
	s_delay_alu instid0(VALU_DEP_1) | instskip(NEXT) | instid1(VALU_DEP_1)
	v_fma_f64 v[26:27], v[150:151], s[26:27], -v[36:37]
	v_add_f64_e32 v[26:27], v[26:27], v[42:43]
	v_mul_f64_e32 v[42:43], s[22:23], v[20:21]
	s_delay_alu instid0(VALU_DEP_1) | instskip(NEXT) | instid1(VALU_DEP_1)
	v_fma_f64 v[28:29], v[223:224], s[36:37], v[42:43]
	v_add_f64_e32 v[24:25], v[28:29], v[24:25]
	v_fma_f64 v[28:29], v[200:201], s[22:23], -v[156:157]
	s_delay_alu instid0(VALU_DEP_1) | instskip(SKIP_1) | instid1(VALU_DEP_1)
	v_add_f64_e32 v[26:27], v[28:29], v[26:27]
	v_fma_f64 v[28:29], v[245:246], s[46:47], v[158:159]
	v_add_f64_e32 v[24:25], v[28:29], v[24:25]
	v_fma_f64 v[28:29], v[206:207], s[12:13], -v[160:161]
	s_delay_alu instid0(VALU_DEP_1) | instskip(SKIP_1) | instid1(VALU_DEP_1)
	v_add_f64_e32 v[26:27], v[28:29], v[26:27]
	v_fma_f64 v[28:29], v[249:250], s[18:19], v[162:163]
	v_add_f64_e32 v[24:25], v[28:29], v[24:25]
	v_fma_f64 v[28:29], v[225:226], s[0:1], -v[164:165]
	s_delay_alu instid0(VALU_DEP_1) | instskip(SKIP_1) | instid1(VALU_DEP_1)
	v_add_f64_e32 v[28:29], v[28:29], v[26:27]
	v_fma_f64 v[26:27], v[251:252], s[30:31], v[166:167]
	v_add_f64_e32 v[26:27], v[26:27], v[24:25]
	v_fma_f64 v[24:25], v[233:234], s[24:25], -v[168:169]
	s_delay_alu instid0(VALU_DEP_1) | instskip(SKIP_1) | instid1(VALU_DEP_1)
	v_add_f64_e32 v[24:25], v[24:25], v[28:29]
	v_mul_f64_e32 v[28:29], s[24:25], v[154:155]
	v_fma_f64 v[30:31], v[204:205], s[40:41], v[28:29]
	v_fma_f64 v[28:29], v[204:205], s[30:31], v[28:29]
	s_delay_alu instid0(VALU_DEP_2) | instskip(SKIP_1) | instid1(VALU_DEP_3)
	v_add_f64_e32 v[30:31], v[30:31], v[32:33]
	v_mul_f64_e32 v[32:33], s[40:41], v[221:222]
	v_add_f64_e32 v[28:29], v[28:29], v[34:35]
	s_delay_alu instid0(VALU_DEP_2) | instskip(NEXT) | instid1(VALU_DEP_1)
	v_fma_f64 v[221:222], v[150:151], s[24:25], -v[32:33]
	v_add_f64_e32 v[40:41], v[221:222], v[40:41]
	v_mul_f64_e32 v[221:222], s[12:13], v[20:21]
	s_delay_alu instid0(VALU_DEP_1) | instskip(NEXT) | instid1(VALU_DEP_1)
	v_fma_f64 v[198:199], v[223:224], s[46:47], v[221:222]
	v_add_f64_e32 v[30:31], v[198:199], v[30:31]
	v_mul_f64_e32 v[198:199], s[46:47], v[247:248]
	s_delay_alu instid0(VALU_DEP_1) | instskip(NEXT) | instid1(VALU_DEP_1)
	v_fma_f64 v[247:248], v[200:201], s[12:13], -v[198:199]
	v_add_f64_e32 v[40:41], v[247:248], v[40:41]
	v_mul_f64_e32 v[247:248], s[16:17], v[196:197]
	s_delay_alu instid0(VALU_DEP_1) | instskip(NEXT) | instid1(VALU_DEP_1)
	v_fma_f64 v[194:195], v[245:246], s[20:21], v[247:248]
	v_add_f64_e32 v[30:31], v[194:195], v[30:31]
	v_mul_f64_e32 v[194:195], s[20:21], v[253:254]
	s_delay_alu instid0(VALU_DEP_1) | instskip(NEXT) | instid1(VALU_DEP_1)
	;; [unrolled: 8-line block ×3, first 2 shown]
	v_fma_f64 v[0:1], v[225:226], s[26:27], -v[46:47]
	v_add_f64_e32 v[0:1], v[0:1], v[40:41]
	v_mul_f64_e32 v[40:41], s[42:43], v[2:3]
	v_fma_f64 v[2:3], v[251:252], s[42:43], v[170:171]
	s_delay_alu instid0(VALU_DEP_2) | instskip(NEXT) | instid1(VALU_DEP_2)
	v_fma_f64 v[34:35], v[233:234], s[0:1], v[40:41]
	v_add_f64_e32 v[2:3], v[2:3], v[30:31]
	v_fma_f64 v[30:31], v[233:234], s[0:1], -v[40:41]
	scratch_load_b64 v[40:41], off, off offset:464 th:TH_LOAD_LU ; 8-byte Folded Reload
	v_add_f64_e32 v[0:1], v[30:31], v[0:1]
	v_fma_f64 v[30:31], v[150:151], s[24:25], v[32:33]
	scratch_load_b64 v[32:33], off, off offset:480 th:TH_LOAD_LU ; 8-byte Folded Reload
	s_wait_loadcnt 0x0
	v_add_f64_e32 v[30:31], v[30:31], v[32:33]
	v_fma_f64 v[32:33], v[223:224], s[14:15], v[221:222]
	s_delay_alu instid0(VALU_DEP_1) | instskip(SKIP_1) | instid1(VALU_DEP_1)
	v_add_f64_e32 v[28:29], v[32:33], v[28:29]
	v_fma_f64 v[32:33], v[200:201], s[12:13], v[198:199]
	v_add_f64_e32 v[30:31], v[32:33], v[30:31]
	v_fma_f64 v[32:33], v[245:246], s[44:45], v[247:248]
	s_delay_alu instid0(VALU_DEP_1) | instskip(SKIP_1) | instid1(VALU_DEP_1)
	v_add_f64_e32 v[28:29], v[32:33], v[28:29]
	v_fma_f64 v[32:33], v[206:207], s[16:17], v[194:195]
	v_add_f64_e32 v[30:31], v[32:33], v[30:31]
	v_fma_f64 v[32:33], v[249:250], s[34:35], v[253:254]
	s_delay_alu instid0(VALU_DEP_1) | instskip(SKIP_2) | instid1(VALU_DEP_2)
	v_add_f64_e32 v[28:29], v[32:33], v[28:29]
	v_fma_f64 v[32:33], v[225:226], s[26:27], v[46:47]
	v_mul_f64_e32 v[46:47], s[22:23], v[206:207]
	v_add_f64_e32 v[32:33], v[32:33], v[30:31]
	v_fma_f64 v[30:31], v[251:252], s[18:19], v[170:171]
	v_mov_b32_e32 v171, v177
	s_delay_alu instid0(VALU_DEP_2) | instskip(NEXT) | instid1(VALU_DEP_4)
	v_add_f64_e32 v[30:31], v[30:31], v[28:29]
	v_add_f64_e32 v[28:29], v[34:35], v[32:33]
	v_fma_f64 v[34:35], v[150:151], s[26:27], v[36:37]
	scratch_load_b64 v[36:37], off, off offset:472 th:TH_LOAD_LU ; 8-byte Folded Reload
	v_fma_f64 v[32:33], v[204:205], s[38:39], v[212:213]
	v_mov_b32_e32 v212, v176
	s_delay_alu instid0(VALU_DEP_2)
	v_add_f64_e32 v[32:33], v[32:33], v[38:39]
	v_fma_f64 v[38:39], v[233:234], s[24:25], v[168:169]
	s_wait_loadcnt 0x0
	v_add_f64_e32 v[34:35], v[34:35], v[36:37]
	v_fma_f64 v[36:37], v[223:224], s[28:29], v[42:43]
	scratch_load_b64 v[42:43], off, off offset:456 th:TH_LOAD_LU ; 8-byte Folded Reload
	v_add_f64_e32 v[32:33], v[36:37], v[32:33]
	v_fma_f64 v[36:37], v[200:201], s[22:23], v[156:157]
	s_delay_alu instid0(VALU_DEP_1) | instskip(SKIP_1) | instid1(VALU_DEP_1)
	v_add_f64_e32 v[34:35], v[36:37], v[34:35]
	v_fma_f64 v[36:37], v[245:246], s[14:15], v[158:159]
	v_add_f64_e32 v[32:33], v[36:37], v[32:33]
	v_fma_f64 v[36:37], v[206:207], s[12:13], v[160:161]
	s_delay_alu instid0(VALU_DEP_1) | instskip(SKIP_1) | instid1(VALU_DEP_1)
	v_add_f64_e32 v[34:35], v[36:37], v[34:35]
	v_fma_f64 v[36:37], v[249:250], s[42:43], v[162:163]
	;; [unrolled: 5-line block ×3, first 2 shown]
	v_add_f64_e32 v[34:35], v[34:35], v[32:33]
	s_delay_alu instid0(VALU_DEP_3) | instskip(SKIP_2) | instid1(VALU_DEP_2)
	v_add_f64_e32 v[32:33], v[38:39], v[36:37]
	v_fma_f64 v[36:37], v[204:205], s[36:37], v[210:211]
	v_fma_f64 v[38:39], v[223:224], s[38:39], v[208:209]
	v_add_f64_e32 v[36:37], v[36:37], v[40:41]
	v_fma_f64 v[40:41], v[150:151], s[22:23], v[202:203]
	s_delay_alu instid0(VALU_DEP_2) | instskip(SKIP_1) | instid1(VALU_DEP_2)
	v_add_f64_e32 v[36:37], v[38:39], v[36:37]
	s_wait_loadcnt 0x0
	v_add_f64_e32 v[40:41], v[40:41], v[42:43]
	v_fma_f64 v[42:43], v[245:246], s[30:31], v[219:220]
	v_fma_f64 v[38:39], v[200:201], s[26:27], v[215:216]
	v_mov_b32_e32 v216, v214
	s_clause 0x2
	scratch_load_b32 v215, off, off offset:316
	scratch_load_b32 v213, off, off offset:312
	;; [unrolled: 1-line block ×3, first 2 shown]
	v_add_f64_e32 v[36:37], v[42:43], v[36:37]
	v_add_f64_e32 v[38:39], v[38:39], v[40:41]
	v_fma_f64 v[40:41], v[249:250], s[20:21], v[231:232]
	v_fma_f64 v[42:43], v[206:207], s[24:25], v[227:228]
	v_dual_mov_b32 v232, v179 :: v_dual_mov_b32 v231, v178
	s_delay_alu instid0(VALU_DEP_3) | instskip(NEXT) | instid1(VALU_DEP_3)
	v_add_f64_e32 v[36:37], v[40:41], v[36:37]
	v_add_f64_e32 v[38:39], v[42:43], v[38:39]
	v_fma_f64 v[42:43], v[251:252], s[14:15], v[239:240]
	v_fma_f64 v[40:41], v[225:226], s[16:17], v[235:236]
	s_delay_alu instid0(VALU_DEP_2)
	v_add_f64_e32 v[223:224], v[42:43], v[36:37]
	v_mul_f64_e32 v[36:37], s[16:17], v[20:21]
	v_mov_b32_e32 v20, v22
	scratch_load_b64 v[21:22], off, off offset:504 th:TH_LOAD_LU ; 8-byte Folded Reload
	v_add_f64_e32 v[38:39], v[40:41], v[38:39]
	v_fma_f64 v[40:41], v[233:234], s[12:13], v[243:244]
	v_mul_f64_e32 v[42:43], s[16:17], v[200:201]
	v_add_f64_e32 v[36:37], v[186:187], v[36:37]
	s_delay_alu instid0(VALU_DEP_3) | instskip(SKIP_3) | instid1(VALU_DEP_2)
	v_add_f64_e32 v[221:222], v[40:41], v[38:39]
	v_mul_f64_e32 v[38:39], s[0:1], v[154:155]
	v_mul_f64_e32 v[40:41], s[0:1], v[150:151]
	v_add_f64_e64 v[42:43], v[42:43], -v[182:183]
	v_add_f64_e64 v[40:41], v[40:41], -v[44:45]
	v_mul_f64_e32 v[44:45], s[22:23], v[196:197]
	s_delay_alu instid0(VALU_DEP_1)
	v_add_f64_e32 v[44:45], v[144:145], v[44:45]
	s_wait_loadcnt 0x0
	v_add_f64_e32 v[38:39], v[21:22], v[38:39]
	scratch_load_b64 v[21:22], off, off offset:440 th:TH_LOAD_LU ; 8-byte Folded Reload
	s_wait_loadcnt 0x0
	v_add_f64_e32 v[38:39], v[38:39], v[21:22]
	scratch_load_b64 v[21:22], off, off offset:448 th:TH_LOAD_LU ; 8-byte Folded Reload
	v_add_f64_e32 v[36:37], v[36:37], v[38:39]
	s_delay_alu instid0(VALU_DEP_1)
	v_add_f64_e32 v[36:37], v[44:45], v[36:37]
	v_mul_f64_e32 v[44:45], s[26:27], v[241:242]
	s_wait_loadcnt 0x0
	v_add_f64_e32 v[40:41], v[40:41], v[21:22]
	scratch_load_b64 v[21:22], off, off offset:424 th:TH_LOAD_LU ; 8-byte Folded Reload
	v_add_f64_e32 v[38:39], v[42:43], v[40:41]
	v_mul_f64_e32 v[40:41], s[24:25], v[237:238]
	v_mul_f64_e32 v[42:43], s[24:25], v[225:226]
	s_delay_alu instid0(VALU_DEP_1)
	v_add_f64_e64 v[42:43], v[42:43], -v[191:192]
	s_wait_loadcnt 0x0
	v_add_f64_e64 v[46:47], v[46:47], -v[21:22]
	scratch_load_b64 v[21:22], off, off offset:432 th:TH_LOAD_LU ; 8-byte Folded Reload
	v_add_f64_e32 v[38:39], v[46:47], v[38:39]
	v_mul_f64_e32 v[46:47], s[26:27], v[233:234]
	s_delay_alu instid0(VALU_DEP_2)
	v_add_f64_e32 v[38:39], v[42:43], v[38:39]
	s_wait_loadcnt 0x0
	v_add_f64_e32 v[40:41], v[21:22], v[40:41]
	scratch_load_b64 v[21:22], off, off offset:360 th:TH_LOAD_LU ; 8-byte Folded Reload
	v_add_f64_e32 v[36:37], v[40:41], v[36:37]
	s_wait_loadcnt 0x0
	v_add_f64_e32 v[44:45], v[21:22], v[44:45]
	scratch_load_b64 v[21:22], off, off offset:400 th:TH_LOAD_LU ; 8-byte Folded Reload
	v_add_f64_e32 v[196:197], v[44:45], v[36:37]
	s_wait_loadcnt 0x0
	v_add_f64_e64 v[46:47], v[46:47], -v[21:22]
	s_clause 0x1
	scratch_load_b64 v[21:22], off, off offset:392 th:TH_LOAD_LU
	scratch_load_b64 v[36:37], off, off offset:408 th:TH_LOAD_LU
	v_add_f64_e32 v[194:195], v[46:47], v[38:39]
	s_wait_loadcnt 0x0
	v_add_f64_e32 v[36:37], v[36:37], v[21:22]
	s_clause 0x1
	scratch_load_b64 v[21:22], off, off offset:376 th:TH_LOAD_LU
	scratch_load_b64 v[38:39], off, off offset:416 th:TH_LOAD_LU
	v_add_f64_e32 v[36:37], v[36:37], v[148:149]
	s_delay_alu instid0(VALU_DEP_1) | instskip(NEXT) | instid1(VALU_DEP_1)
	v_add_f64_e32 v[36:37], v[36:37], v[152:153]
	v_add_f64_e32 v[36:37], v[36:37], v[48:49]
	s_wait_loadcnt 0x0
	v_add_f64_e32 v[38:39], v[38:39], v[21:22]
	scratch_load_b64 v[21:22], off, off offset:384 th:TH_LOAD_LU ; 8-byte Folded Reload
	s_wait_loadcnt 0x0
	v_add_f64_e32 v[38:39], v[38:39], v[21:22]
	scratch_load_b64 v[21:22], off, off offset:496 th:TH_LOAD_LU ; 8-byte Folded Reload
	v_add_f64_e32 v[38:39], v[38:39], v[229:230]
	s_wait_loadcnt 0x0
	s_delay_alu instid0(VALU_DEP_1)
	v_add_f64_e32 v[38:39], v[38:39], v[21:22]
	scratch_load_b64 v[21:22], off, off offset:368 th:TH_LOAD_LU ; 8-byte Folded Reload
	s_wait_loadcnt 0x0
	v_add_f64_e32 v[36:37], v[36:37], v[21:22]
	scratch_load_b64 v[21:22], off, off offset:488 th:TH_LOAD_LU ; 8-byte Folded Reload
	v_add_f64_e32 v[36:37], v[36:37], v[146:147]
	s_delay_alu instid0(VALU_DEP_1) | instskip(NEXT) | instid1(VALU_DEP_1)
	v_add_f64_e32 v[36:37], v[36:37], v[50:51]
	v_add_f64_e32 v[36:37], v[36:37], v[189:190]
	s_delay_alu instid0(VALU_DEP_1)
	v_add_f64_e32 v[36:37], v[36:37], v[184:185]
	s_wait_loadcnt 0x0
	v_add_f64_e32 v[38:39], v[38:39], v[21:22]
	scratch_load_b64 v[21:22], off, off offset:512 th:TH_LOAD_LU ; 8-byte Folded Reload
	s_wait_loadcnt 0x0
	v_add_f64_e32 v[38:39], v[38:39], v[21:22]
	scratch_load_b64 v[21:22], off, off offset:352 th:TH_LOAD_LU ; 8-byte Folded Reload
	;; [unrolled: 3-line block ×3, first 2 shown]
	v_add_f64_e32 v[38:39], v[38:39], v[217:218]
	s_delay_alu instid0(VALU_DEP_1)
	v_add_f64_e32 v[38:39], v[38:39], v[180:181]
	s_wait_loadcnt 0x0
	v_add_f64_e32 v[36:37], v[36:37], v[21:22]
	scratch_load_b64 v[21:22], off, off offset:344 th:TH_LOAD_LU ; 8-byte Folded Reload
	s_wait_loadcnt 0x0
	v_add_f64_e32 v[38:39], v[38:39], v[21:22]
	scratch_load_b64 v[21:22], off, off offset:320 th:TH_LOAD_LU ; 8-byte Folded Reload
	s_wait_loadcnt 0x0
	v_add_f64_e32 v[146:147], v[36:37], v[21:22]
	s_clause 0x1
	scratch_load_b64 v[21:22], off, off offset:328 th:TH_LOAD_LU
	scratch_load_b32 v36, off, off offset:228
	s_wait_loadcnt 0x1
	v_add_f64_e32 v[144:145], v[38:39], v[21:22]
	scratch_load_b32 v21, off, off offset:224 ; 4-byte Folded Reload
	s_wait_loadcnt 0x0
	v_mul_u32_u24_e32 v21, 0x9c, v21
	s_delay_alu instid0(VALU_DEP_1)
	v_add_lshl_u32 v21, v21, v36, 4
	ds_store_b128 v21, v[140:143] offset:384
	ds_store_b128 v21, v[24:27] offset:576
	;; [unrolled: 1-line block ×11, first 2 shown]
	scratch_load_b128 v[0:3], off, off      ; 16-byte Folded Reload
	v_lshlrev_b32_e32 v194, 1, v193
	ds_store_b128 v21, v[144:147]
	s_wait_loadcnt 0x0
	ds_store_b128 v21, v[0:3] offset:2304
.LBB0_5:
	s_or_b32 exec_lo, exec_lo, s33
	global_wb scope:SCOPE_SE
	s_wait_storecnt_dscnt 0x0
	s_barrier_signal -1
	s_barrier_wait -1
	global_inv scope:SCOPE_SE
	s_clause 0x1
	global_load_b128 v[10:13], v171, s[10:11] offset:2464
	global_load_b128 v[144:147], v171, s[10:11] offset:2480
	ds_load_b128 v[0:3], v255 offset:7488
	ds_load_b128 v[4:7], v255 offset:9360
	s_mov_b32 s14, 0xe8584caa
	s_mov_b32 s15, 0x3febb67a
	;; [unrolled: 1-line block ×3, first 2 shown]
	s_wait_alu 0xfffe
	s_mov_b32 s12, s14
	s_wait_loadcnt_dscnt 0x101
	v_mul_f64_e32 v[8:9], v[2:3], v[12:13]
	scratch_store_b128 off, v[10:13], off offset:280 ; 16-byte Folded Spill
	v_fma_f64 v[15:16], v[0:1], v[10:11], -v[8:9]
	v_mul_f64_e32 v[0:1], v[0:1], v[12:13]
	s_delay_alu instid0(VALU_DEP_1) | instskip(SKIP_4) | instid1(VALU_DEP_1)
	v_fma_f64 v[17:18], v[2:3], v[10:11], v[0:1]
	ds_load_b128 v[0:3], v255 offset:14976
	ds_load_b128 v[8:11], v255 offset:16848
	s_wait_loadcnt_dscnt 0x1
	v_mul_f64_e32 v[12:13], v[2:3], v[146:147]
	v_fma_f64 v[24:25], v[0:1], v[144:145], -v[12:13]
	v_mul_f64_e32 v[0:1], v[0:1], v[146:147]
	s_delay_alu instid0(VALU_DEP_1)
	v_fma_f64 v[26:27], v[2:3], v[144:145], v[0:1]
	v_add_co_u32 v0, s0, 0xffffffd9, v214
	s_wait_alu 0xf1ff
	v_add_co_ci_u32_e64 v1, null, 0, -1, s0
	v_cmp_gt_u16_e64 s0, 39, v214
	s_wait_alu 0xf1ff
	s_delay_alu instid0(VALU_DEP_1) | instskip(NEXT) | instid1(VALU_DEP_3)
	v_cndmask_b32_e64 v0, v0, v193, s0
	v_cndmask_b32_e64 v1, v1, v188, s0
	s_delay_alu instid0(VALU_DEP_1) | instskip(NEXT) | instid1(VALU_DEP_1)
	v_lshlrev_b64_e32 v[1:2], 5, v[0:1]
	v_add_co_u32 v1, s0, s10, v1
	s_wait_alu 0xf1ff
	s_delay_alu instid0(VALU_DEP_2)
	v_add_co_ci_u32_e64 v2, s0, s11, v2, s0
	s_clause 0x1
	global_load_b128 v[155:158], v[1:2], off offset:2464
	global_load_b128 v[151:154], v[1:2], off offset:2480
	s_wait_loadcnt 0x1
	v_mul_f64_e32 v[1:2], v[6:7], v[157:158]
	s_delay_alu instid0(VALU_DEP_1) | instskip(SKIP_1) | instid1(VALU_DEP_1)
	v_fma_f64 v[21:22], v[4:5], v[155:156], -v[1:2]
	v_mul_f64_e32 v[1:2], v[4:5], v[157:158]
	v_fma_f64 v[28:29], v[6:7], v[155:156], v[1:2]
	s_wait_loadcnt_dscnt 0x0
	v_mul_f64_e32 v[1:2], v[10:11], v[153:154]
	s_delay_alu instid0(VALU_DEP_1) | instskip(SKIP_1) | instid1(VALU_DEP_1)
	v_fma_f64 v[30:31], v[8:9], v[151:152], -v[1:2]
	v_mul_f64_e32 v[1:2], v[8:9], v[153:154]
	v_fma_f64 v[32:33], v[10:11], v[151:152], v[1:2]
	v_lshrrev_b16 v1, 2, v20
	s_delay_alu instid0(VALU_DEP_1) | instskip(NEXT) | instid1(VALU_DEP_1)
	v_and_b32_e32 v1, 0xffff, v1
	v_mul_u32_u24_e32 v1, 0xd21, v1
	s_delay_alu instid0(VALU_DEP_1) | instskip(NEXT) | instid1(VALU_DEP_1)
	v_lshrrev_b32_e32 v1, 17, v1
	v_mul_lo_u16 v2, 0x9c, v1
	s_delay_alu instid0(VALU_DEP_1) | instskip(NEXT) | instid1(VALU_DEP_1)
	v_sub_nc_u16 v2, v20, v2
	v_lshlrev_b16 v3, 5, v2
	s_delay_alu instid0(VALU_DEP_1) | instskip(NEXT) | instid1(VALU_DEP_1)
	v_and_b32_e32 v3, 0xffff, v3
	v_add_co_u32 v3, s0, s10, v3
	s_wait_alu 0xf1ff
	v_add_co_ci_u32_e64 v4, null, s11, 0, s0
	s_clause 0x1
	global_load_b128 v[159:162], v[3:4], off offset:2464
	global_load_b128 v[163:166], v[3:4], off offset:2480
	ds_load_b128 v[3:6], v255 offset:11232
	ds_load_b128 v[7:10], v255 offset:13104
	s_wait_loadcnt_dscnt 0x101
	v_mul_f64_e32 v[11:12], v[5:6], v[161:162]
	s_delay_alu instid0(VALU_DEP_1) | instskip(SKIP_1) | instid1(VALU_DEP_1)
	v_fma_f64 v[34:35], v[3:4], v[159:160], -v[11:12]
	v_mul_f64_e32 v[3:4], v[3:4], v[161:162]
	v_fma_f64 v[36:37], v[5:6], v[159:160], v[3:4]
	ds_load_b128 v[3:6], v255 offset:18720
	ds_load_b128 v[11:14], v255 offset:20592
	s_wait_loadcnt_dscnt 0x1
	v_mul_f64_e32 v[38:39], v[5:6], v[165:166]
	s_delay_alu instid0(VALU_DEP_1) | instskip(SKIP_1) | instid1(VALU_DEP_1)
	v_fma_f64 v[38:39], v[3:4], v[163:164], -v[38:39]
	v_mul_f64_e32 v[3:4], v[3:4], v[165:166]
	v_fma_f64 v[40:41], v[5:6], v[163:164], v[3:4]
	v_lshrrev_b16 v3, 2, v23
	s_delay_alu instid0(VALU_DEP_1) | instskip(NEXT) | instid1(VALU_DEP_1)
	v_and_b32_e32 v3, 0xffff, v3
	v_mul_u32_u24_e32 v3, 0xd21, v3
	s_delay_alu instid0(VALU_DEP_1) | instskip(NEXT) | instid1(VALU_DEP_1)
	v_lshrrev_b32_e32 v3, 17, v3
	v_mul_lo_u16 v3, 0x9c, v3
	s_delay_alu instid0(VALU_DEP_1) | instskip(NEXT) | instid1(VALU_DEP_1)
	v_sub_nc_u16 v19, v23, v3
	v_lshlrev_b16 v3, 5, v19
	s_delay_alu instid0(VALU_DEP_1) | instskip(NEXT) | instid1(VALU_DEP_1)
	v_and_b32_e32 v3, 0xffff, v3
	v_add_co_u32 v3, s0, s10, v3
	s_wait_alu 0xf1ff
	v_add_co_ci_u32_e64 v4, null, s11, 0, s0
	s_clause 0x1
	global_load_b128 v[246:249], v[3:4], off offset:2464
	global_load_b128 v[167:170], v[3:4], off offset:2480
	v_cmp_lt_u16_e64 s0, 38, v214
	s_wait_loadcnt 0x1
	v_mul_f64_e32 v[3:4], v[9:10], v[248:249]
	s_delay_alu instid0(VALU_DEP_1) | instskip(SKIP_1) | instid1(VALU_DEP_1)
	v_fma_f64 v[42:43], v[7:8], v[246:247], -v[3:4]
	v_mul_f64_e32 v[3:4], v[7:8], v[248:249]
	v_fma_f64 v[44:45], v[9:10], v[246:247], v[3:4]
	s_wait_loadcnt_dscnt 0x0
	v_mul_f64_e32 v[3:4], v[13:14], v[169:170]
	s_delay_alu instid0(VALU_DEP_1) | instskip(SKIP_2) | instid1(VALU_DEP_2)
	v_fma_f64 v[46:47], v[11:12], v[167:168], -v[3:4]
	v_mul_f64_e32 v[3:4], v[11:12], v[169:170]
	v_add_f64_e32 v[11:12], v[15:16], v[24:25]
	v_fma_f64 v[180:181], v[13:14], v[167:168], v[3:4]
	ds_load_b128 v[3:6], v255
	ds_load_b128 v[7:10], v255 offset:1872
	s_wait_dscnt 0x1
	v_fma_f64 v[13:14], v[11:12], -0.5, v[3:4]
	v_add_f64_e32 v[11:12], v[17:18], v[26:27]
	v_add_f64_e32 v[3:4], v[3:4], v[15:16]
	s_delay_alu instid0(VALU_DEP_2) | instskip(SKIP_2) | instid1(VALU_DEP_4)
	v_fma_f64 v[176:177], v[11:12], -0.5, v[5:6]
	v_add_f64_e32 v[5:6], v[5:6], v[17:18]
	v_add_f64_e64 v[17:18], v[17:18], -v[26:27]
	v_add_f64_e32 v[3:4], v[3:4], v[24:25]
	v_add_f64_e64 v[23:24], v[15:16], -v[24:25]
	s_delay_alu instid0(VALU_DEP_4) | instskip(NEXT) | instid1(VALU_DEP_4)
	v_add_f64_e32 v[5:6], v[5:6], v[26:27]
	v_fma_f64 v[11:12], v[17:18], s[14:15], v[13:14]
	s_wait_alu 0xfffe
	v_fma_f64 v[15:16], v[17:18], s[12:13], v[13:14]
	s_delay_alu instid0(VALU_DEP_4) | instskip(SKIP_4) | instid1(VALU_DEP_2)
	v_fma_f64 v[13:14], v[23:24], s[12:13], v[176:177]
	v_fma_f64 v[17:18], v[23:24], s[14:15], v[176:177]
	v_add_f64_e32 v[23:24], v[21:22], v[30:31]
	v_add_f64_e32 v[25:26], v[28:29], v[32:33]
	s_wait_dscnt 0x0
	v_fma_f64 v[23:24], v[23:24], -0.5, v[7:8]
	s_delay_alu instid0(VALU_DEP_2) | instskip(SKIP_4) | instid1(VALU_DEP_4)
	v_fma_f64 v[176:177], v[25:26], -0.5, v[9:10]
	v_add_f64_e32 v[9:10], v[9:10], v[28:29]
	v_add_f64_e32 v[7:8], v[7:8], v[21:22]
	v_add_f64_e64 v[25:26], v[28:29], -v[32:33]
	v_add_f64_e64 v[27:28], v[21:22], -v[30:31]
	v_add_f64_e32 v[9:10], v[9:10], v[32:33]
	s_delay_alu instid0(VALU_DEP_4) | instskip(NEXT) | instid1(VALU_DEP_4)
	v_add_f64_e32 v[7:8], v[7:8], v[30:31]
	v_fma_f64 v[21:22], v[25:26], s[14:15], v[23:24]
	v_fma_f64 v[25:26], v[25:26], s[12:13], v[23:24]
	;; [unrolled: 1-line block ×4, first 2 shown]
	ds_load_b128 v[29:32], v255 offset:3744
	ds_load_b128 v[176:179], v255 offset:5616
	global_wb scope:SCOPE_SE
	s_wait_storecnt_dscnt 0x0
	s_barrier_signal -1
	s_barrier_wait -1
	global_inv scope:SCOPE_SE
	ds_store_b128 v255, v[3:6]
	ds_store_b128 v255, v[11:14] offset:2496
	ds_store_b128 v255, v[15:18] offset:4992
	v_add_f64_e32 v[3:4], v[34:35], v[38:39]
	v_add_f64_e64 v[15:16], v[36:37], -v[40:41]
	v_add_f64_e32 v[11:12], v[29:30], v[34:35]
	s_delay_alu instid0(VALU_DEP_3) | instskip(SKIP_2) | instid1(VALU_DEP_2)
	v_fma_f64 v[13:14], v[3:4], -0.5, v[29:30]
	v_add_f64_e32 v[3:4], v[36:37], v[40:41]
	v_add_f64_e64 v[29:30], v[34:35], -v[38:39]
	v_fma_f64 v[17:18], v[3:4], -0.5, v[31:32]
	v_add_f64_e32 v[3:4], v[31:32], v[36:37]
	s_delay_alu instid0(VALU_DEP_1)
	v_add_f64_e32 v[5:6], v[3:4], v[40:41]
	v_add_f64_e32 v[3:4], v[11:12], v[38:39]
	v_fma_f64 v[11:12], v[15:16], s[14:15], v[13:14]
	v_fma_f64 v[15:16], v[15:16], s[12:13], v[13:14]
	;; [unrolled: 1-line block ×4, first 2 shown]
	v_add_f64_e32 v[29:30], v[42:43], v[46:47]
	v_add_f64_e32 v[37:38], v[176:177], v[42:43]
	v_add_f64_e64 v[39:40], v[44:45], -v[180:181]
	s_delay_alu instid0(VALU_DEP_3) | instskip(SKIP_1) | instid1(VALU_DEP_2)
	v_fma_f64 v[33:34], v[29:30], -0.5, v[176:177]
	v_add_f64_e32 v[29:30], v[44:45], v[180:181]
	v_fma_f64 v[176:177], v[39:40], s[14:15], v[33:34]
	s_delay_alu instid0(VALU_DEP_2) | instskip(SKIP_1) | instid1(VALU_DEP_1)
	v_fma_f64 v[35:36], v[29:30], -0.5, v[178:179]
	v_add_f64_e32 v[29:30], v[178:179], v[44:45]
	v_add_f64_e32 v[31:32], v[29:30], v[180:181]
	;; [unrolled: 1-line block ×3, first 2 shown]
	v_add_f64_e64 v[37:38], v[42:43], -v[46:47]
	v_fma_f64 v[180:181], v[39:40], s[12:13], v[33:34]
	s_wait_alu 0xf1ff
	v_cndmask_b32_e64 v33, 0, 0x1d4, s0
	s_add_nc_u64 s[0:1], s[8:9], 0x57c0
	s_delay_alu instid0(VALU_DEP_1)
	v_add_lshl_u32 v217, v0, v33, 4
	v_mad_u16 v0, 0x1d4, v1, v2
	ds_store_b128 v217, v[7:10]
	ds_store_b128 v217, v[21:24] offset:2496
	ds_store_b128 v217, v[25:28] offset:4992
	v_and_b32_e32 v0, 0xffff, v0
	s_delay_alu instid0(VALU_DEP_1)
	v_lshlrev_b32_e32 v254, 4, v0
	v_and_b32_e32 v0, 0xffff, v19
	ds_store_b128 v254, v[3:6]
	ds_store_b128 v254, v[11:14] offset:2496
	ds_store_b128 v254, v[15:18] offset:4992
	v_lshlrev_b32_e32 v150, 4, v0
	v_fma_f64 v[178:179], v[37:38], s[12:13], v[35:36]
	v_fma_f64 v[182:183], v[37:38], s[14:15], v[35:36]
	ds_store_b128 v150, v[29:32] offset:14976
	ds_store_b128 v150, v[176:179] offset:17472
	;; [unrolled: 1-line block ×3, first 2 shown]
	global_wb scope:SCOPE_SE
	s_wait_dscnt 0x0
	s_barrier_signal -1
	s_barrier_wait -1
	global_inv scope:SCOPE_SE
	s_clause 0x1
	global_load_b128 v[176:179], v171, s[10:11] offset:7456
	global_load_b128 v[180:183], v171, s[10:11] offset:7472
	ds_load_b128 v[0:3], v255 offset:7488
	ds_load_b128 v[4:7], v255 offset:9360
	s_wait_loadcnt_dscnt 0x101
	v_mul_f64_e32 v[8:9], v[2:3], v[178:179]
	s_delay_alu instid0(VALU_DEP_1) | instskip(SKIP_1) | instid1(VALU_DEP_1)
	v_fma_f64 v[12:13], v[0:1], v[176:177], -v[8:9]
	v_mul_f64_e32 v[0:1], v[0:1], v[178:179]
	v_fma_f64 v[14:15], v[2:3], v[176:177], v[0:1]
	ds_load_b128 v[0:3], v255 offset:14976
	ds_load_b128 v[8:11], v255 offset:16848
	s_wait_loadcnt_dscnt 0x1
	v_mul_f64_e32 v[16:17], v[2:3], v[182:183]
	s_delay_alu instid0(VALU_DEP_1) | instskip(SKIP_1) | instid1(VALU_DEP_1)
	v_fma_f64 v[16:17], v[0:1], v[180:181], -v[16:17]
	v_mul_f64_e32 v[0:1], v[0:1], v[182:183]
	v_fma_f64 v[18:19], v[2:3], v[180:181], v[0:1]
	v_lshlrev_b32_e32 v0, 4, v194
	s_clause 0x1
	global_load_b128 v[188:191], v0, s[10:11] offset:7456
	global_load_b128 v[184:187], v0, s[10:11] offset:7472
	s_wait_loadcnt 0x1
	v_mul_f64_e32 v[0:1], v[6:7], v[190:191]
	s_delay_alu instid0(VALU_DEP_1) | instskip(SKIP_1) | instid1(VALU_DEP_1)
	v_fma_f64 v[21:22], v[4:5], v[188:189], -v[0:1]
	v_mul_f64_e32 v[0:1], v[4:5], v[190:191]
	v_fma_f64 v[23:24], v[6:7], v[188:189], v[0:1]
	s_wait_loadcnt_dscnt 0x0
	v_mul_f64_e32 v[0:1], v[10:11], v[186:187]
	s_delay_alu instid0(VALU_DEP_1) | instskip(SKIP_1) | instid1(VALU_DEP_1)
	v_fma_f64 v[25:26], v[8:9], v[184:185], -v[0:1]
	v_mul_f64_e32 v[0:1], v[8:9], v[186:187]
	v_fma_f64 v[27:28], v[10:11], v[184:185], v[0:1]
	v_lshlrev_b32_e32 v0, 5, v20
	s_clause 0x1
	global_load_b128 v[192:195], v0, s[10:11] offset:7456
	global_load_b128 v[196:199], v0, s[10:11] offset:7472
	ds_load_b128 v[0:3], v255 offset:11232
	ds_load_b128 v[4:7], v255 offset:13104
	s_wait_loadcnt_dscnt 0x101
	v_mul_f64_e32 v[8:9], v[2:3], v[194:195]
	s_delay_alu instid0(VALU_DEP_1) | instskip(SKIP_1) | instid1(VALU_DEP_1)
	v_fma_f64 v[32:33], v[0:1], v[192:193], -v[8:9]
	v_mul_f64_e32 v[0:1], v[0:1], v[194:195]
	v_fma_f64 v[34:35], v[2:3], v[192:193], v[0:1]
	ds_load_b128 v[0:3], v255 offset:18720
	ds_load_b128 v[8:11], v255 offset:20592
	scratch_load_b32 v140, off, off offset:232 th:TH_LOAD_LU ; 4-byte Folded Reload
	s_wait_loadcnt 0x0
	s_clause 0x1
	global_load_b128 v[204:207], v140, s[10:11] offset:7456
	global_load_b128 v[200:203], v140, s[10:11] offset:7472
	s_wait_dscnt 0x1
	v_mul_f64_e32 v[29:30], v[2:3], v[198:199]
	s_delay_alu instid0(VALU_DEP_1) | instskip(SKIP_1) | instid1(VALU_DEP_2)
	v_fma_f64 v[36:37], v[0:1], v[196:197], -v[29:30]
	v_mul_f64_e32 v[0:1], v[0:1], v[198:199]
	v_add_f64_e32 v[208:209], v[32:33], v[36:37]
	s_delay_alu instid0(VALU_DEP_2) | instskip(NEXT) | instid1(VALU_DEP_1)
	v_fma_f64 v[38:39], v[2:3], v[196:197], v[0:1]
	v_add_f64_e32 v[210:211], v[34:35], v[38:39]
	s_wait_loadcnt 0x1
	v_mul_f64_e32 v[0:1], v[6:7], v[206:207]
	s_delay_alu instid0(VALU_DEP_1) | instskip(SKIP_1) | instid1(VALU_DEP_1)
	v_fma_f64 v[40:41], v[4:5], v[204:205], -v[0:1]
	v_mul_f64_e32 v[0:1], v[4:5], v[206:207]
	v_fma_f64 v[42:43], v[6:7], v[204:205], v[0:1]
	s_wait_loadcnt_dscnt 0x0
	v_mul_f64_e32 v[0:1], v[10:11], v[202:203]
	s_delay_alu instid0(VALU_DEP_1) | instskip(SKIP_2) | instid1(VALU_DEP_2)
	v_fma_f64 v[44:45], v[8:9], v[200:201], -v[0:1]
	v_mul_f64_e32 v[0:1], v[8:9], v[202:203]
	v_add_f64_e32 v[8:9], v[12:13], v[16:17]
	v_fma_f64 v[46:47], v[10:11], v[200:201], v[0:1]
	ds_load_b128 v[0:3], v255
	ds_load_b128 v[4:7], v255 offset:1872
	s_wait_dscnt 0x1
	v_fma_f64 v[10:11], v[8:9], -0.5, v[0:1]
	v_add_f64_e32 v[8:9], v[14:15], v[18:19]
	v_add_f64_e32 v[0:1], v[0:1], v[12:13]
	s_delay_alu instid0(VALU_DEP_2) | instskip(SKIP_2) | instid1(VALU_DEP_4)
	v_fma_f64 v[29:30], v[8:9], -0.5, v[2:3]
	v_add_f64_e32 v[2:3], v[2:3], v[14:15]
	v_add_f64_e64 v[14:15], v[14:15], -v[18:19]
	v_add_f64_e32 v[0:1], v[0:1], v[16:17]
	v_add_f64_e64 v[16:17], v[12:13], -v[16:17]
	s_delay_alu instid0(VALU_DEP_4) | instskip(NEXT) | instid1(VALU_DEP_4)
	v_add_f64_e32 v[2:3], v[2:3], v[18:19]
	v_fma_f64 v[8:9], v[14:15], s[14:15], v[10:11]
	v_fma_f64 v[12:13], v[14:15], s[12:13], v[10:11]
	s_delay_alu instid0(VALU_DEP_4) | instskip(SKIP_3) | instid1(VALU_DEP_1)
	v_fma_f64 v[10:11], v[16:17], s[12:13], v[29:30]
	v_fma_f64 v[14:15], v[16:17], s[14:15], v[29:30]
	v_add_f64_e32 v[16:17], v[21:22], v[25:26]
	s_wait_dscnt 0x0
	v_fma_f64 v[18:19], v[16:17], -0.5, v[4:5]
	v_add_f64_e32 v[16:17], v[23:24], v[27:28]
	v_add_f64_e32 v[4:5], v[4:5], v[21:22]
	s_delay_alu instid0(VALU_DEP_2) | instskip(SKIP_2) | instid1(VALU_DEP_4)
	v_fma_f64 v[29:30], v[16:17], -0.5, v[6:7]
	v_add_f64_e32 v[6:7], v[6:7], v[23:24]
	v_add_f64_e64 v[23:24], v[23:24], -v[27:28]
	v_add_f64_e32 v[4:5], v[4:5], v[25:26]
	v_add_f64_e64 v[25:26], v[21:22], -v[25:26]
	s_delay_alu instid0(VALU_DEP_4) | instskip(NEXT) | instid1(VALU_DEP_4)
	v_add_f64_e32 v[6:7], v[6:7], v[27:28]
	v_fma_f64 v[16:17], v[23:24], s[14:15], v[18:19]
	v_fma_f64 v[20:21], v[23:24], s[12:13], v[18:19]
	s_delay_alu instid0(VALU_DEP_4)
	v_fma_f64 v[18:19], v[25:26], s[12:13], v[29:30]
	v_fma_f64 v[22:23], v[25:26], s[14:15], v[29:30]
	ds_load_b128 v[24:27], v255 offset:3744
	ds_load_b128 v[28:31], v255 offset:5616
	s_wait_dscnt 0x1
	v_fma_f64 v[208:209], v[208:209], -0.5, v[24:25]
	v_add_f64_e32 v[24:25], v[24:25], v[32:33]
	v_fma_f64 v[210:211], v[210:211], -0.5, v[26:27]
	v_add_f64_e32 v[26:27], v[26:27], v[34:35]
	v_add_f64_e64 v[34:35], v[34:35], -v[38:39]
	s_delay_alu instid0(VALU_DEP_4) | instskip(SKIP_1) | instid1(VALU_DEP_4)
	v_add_f64_e32 v[24:25], v[24:25], v[36:37]
	v_add_f64_e64 v[36:37], v[32:33], -v[36:37]
	v_add_f64_e32 v[26:27], v[26:27], v[38:39]
	s_delay_alu instid0(VALU_DEP_4)
	v_fma_f64 v[32:33], v[34:35], s[14:15], v[208:209]
	v_fma_f64 v[218:219], v[34:35], s[12:13], v[208:209]
	v_add_f64_e32 v[38:39], v[42:43], v[46:47]
	v_fma_f64 v[34:35], v[36:37], s[12:13], v[210:211]
	v_fma_f64 v[220:221], v[36:37], s[14:15], v[210:211]
	v_add_f64_e32 v[36:37], v[40:41], v[44:45]
	s_wait_dscnt 0x0
	s_delay_alu instid0(VALU_DEP_4) | instskip(SKIP_2) | instid1(VALU_DEP_4)
	v_fma_f64 v[38:39], v[38:39], -0.5, v[30:31]
	v_add_f64_e32 v[30:31], v[30:31], v[42:43]
	v_add_f64_e64 v[42:43], v[42:43], -v[46:47]
	v_fma_f64 v[36:37], v[36:37], -0.5, v[28:29]
	v_add_f64_e32 v[28:29], v[28:29], v[40:41]
	v_add_f64_e64 v[40:41], v[40:41], -v[44:45]
	v_add_f64_e32 v[30:31], v[30:31], v[46:47]
	s_delay_alu instid0(VALU_DEP_4) | instskip(NEXT) | instid1(VALU_DEP_4)
	v_fma_f64 v[222:223], v[42:43], s[14:15], v[36:37]
	v_add_f64_e32 v[28:29], v[28:29], v[44:45]
	s_delay_alu instid0(VALU_DEP_4)
	v_fma_f64 v[224:225], v[40:41], s[12:13], v[38:39]
	v_fma_f64 v[226:227], v[42:43], s[12:13], v[36:37]
	;; [unrolled: 1-line block ×3, first 2 shown]
	ds_store_b128 v255, v[0:3]
	ds_store_b128 v255, v[4:7] offset:1872
	ds_store_b128 v255, v[24:27] offset:3744
	;; [unrolled: 1-line block ×11, first 2 shown]
	global_wb scope:SCOPE_SE
	s_wait_dscnt 0x0
	s_barrier_signal -1
	s_barrier_wait -1
	global_inv scope:SCOPE_SE
	global_load_b128 v[0:3], v[231:232], off offset:22464
	ds_load_b128 v[4:7], v255
	ds_load_b128 v[8:11], v255 offset:1872
	v_lshlrev_b32_e32 v36, 4, v214
	s_wait_loadcnt_dscnt 0x1
	v_mul_f64_e32 v[12:13], v[6:7], v[2:3]
	v_mul_f64_e32 v[14:15], v[4:5], v[2:3]
	s_delay_alu instid0(VALU_DEP_2) | instskip(NEXT) | instid1(VALU_DEP_2)
	v_fma_f64 v[2:3], v[4:5], v[0:1], -v[12:13]
	v_fma_f64 v[4:5], v[6:7], v[0:1], v[14:15]
	global_load_b128 v[12:15], v36, s[0:1] offset:11232
	ds_load_b128 v[16:19], v255 offset:11232
	ds_load_b128 v[20:23], v255 offset:13104
	s_clause 0x2
	global_load_b128 v[24:27], v36, s[0:1] offset:9360
	global_load_b128 v[28:31], v36, s[0:1] offset:1872
	;; [unrolled: 1-line block ×3, first 2 shown]
	s_wait_loadcnt_dscnt 0x301
	v_mul_f64_e32 v[0:1], v[18:19], v[14:15]
	v_mul_f64_e32 v[6:7], v[16:17], v[14:15]
	s_delay_alu instid0(VALU_DEP_2) | instskip(NEXT) | instid1(VALU_DEP_2)
	v_fma_f64 v[14:15], v[16:17], v[12:13], -v[0:1]
	v_fma_f64 v[16:17], v[18:19], v[12:13], v[6:7]
	s_wait_loadcnt 0x1
	v_mul_f64_e32 v[0:1], v[10:11], v[30:31]
	v_mul_f64_e32 v[12:13], v[8:9], v[30:31]
	s_delay_alu instid0(VALU_DEP_2) | instskip(NEXT) | instid1(VALU_DEP_2)
	v_fma_f64 v[6:7], v[8:9], v[28:29], -v[0:1]
	v_fma_f64 v[8:9], v[10:11], v[28:29], v[12:13]
	s_clause 0x1
	global_load_b128 v[10:13], v36, s[0:1] offset:13104
	global_load_b128 v[28:31], v36, s[0:1] offset:14976
	s_wait_loadcnt_dscnt 0x100
	v_mul_f64_e32 v[0:1], v[22:23], v[12:13]
	v_mul_f64_e32 v[12:13], v[20:21], v[12:13]
	s_delay_alu instid0(VALU_DEP_2) | instskip(NEXT) | instid1(VALU_DEP_2)
	v_fma_f64 v[18:19], v[20:21], v[10:11], -v[0:1]
	v_fma_f64 v[20:21], v[22:23], v[10:11], v[12:13]
	ds_load_b128 v[10:13], v255 offset:3744
	ds_load_b128 v[218:221], v255 offset:5616
	s_wait_dscnt 0x1
	v_mul_f64_e32 v[0:1], v[12:13], v[34:35]
	v_mul_f64_e32 v[22:23], v[10:11], v[34:35]
	s_delay_alu instid0(VALU_DEP_2) | instskip(NEXT) | instid1(VALU_DEP_2)
	v_fma_f64 v[10:11], v[10:11], v[32:33], -v[0:1]
	v_fma_f64 v[12:13], v[12:13], v[32:33], v[22:23]
	ds_load_b128 v[32:35], v255 offset:14976
	ds_load_b128 v[222:225], v255 offset:16848
	s_clause 0x1
	global_load_b128 v[226:229], v36, s[0:1] offset:5616
	global_load_b128 v[230:233], v36, s[0:1] offset:7488
	s_wait_loadcnt_dscnt 0x201
	v_mul_f64_e32 v[0:1], v[34:35], v[30:31]
	v_mul_f64_e32 v[22:23], v[32:33], v[30:31]
	s_delay_alu instid0(VALU_DEP_2) | instskip(NEXT) | instid1(VALU_DEP_2)
	v_fma_f64 v[30:31], v[32:33], v[28:29], -v[0:1]
	v_fma_f64 v[32:33], v[34:35], v[28:29], v[22:23]
	s_wait_loadcnt 0x1
	v_mul_f64_e32 v[0:1], v[220:221], v[228:229]
	v_mul_f64_e32 v[22:23], v[218:219], v[228:229]
	s_delay_alu instid0(VALU_DEP_2) | instskip(NEXT) | instid1(VALU_DEP_2)
	v_fma_f64 v[218:219], v[218:219], v[226:227], -v[0:1]
	v_fma_f64 v[220:221], v[220:221], v[226:227], v[22:23]
	s_clause 0x1
	global_load_b128 v[226:229], v36, s[0:1] offset:16848
	global_load_b128 v[234:237], v36, s[0:1] offset:18720
	s_wait_loadcnt_dscnt 0x100
	v_mul_f64_e32 v[0:1], v[224:225], v[228:229]
	v_mul_f64_e32 v[22:23], v[222:223], v[228:229]
	s_delay_alu instid0(VALU_DEP_2) | instskip(NEXT) | instid1(VALU_DEP_2)
	v_fma_f64 v[222:223], v[222:223], v[226:227], -v[0:1]
	v_fma_f64 v[224:225], v[224:225], v[226:227], v[22:23]
	ds_load_b128 v[226:229], v255 offset:7488
	ds_load_b128 v[238:241], v255 offset:9360
	s_wait_dscnt 0x1
	v_mul_f64_e32 v[0:1], v[228:229], v[232:233]
	v_mul_f64_e32 v[22:23], v[226:227], v[232:233]
	s_delay_alu instid0(VALU_DEP_2) | instskip(NEXT) | instid1(VALU_DEP_2)
	v_fma_f64 v[226:227], v[226:227], v[230:231], -v[0:1]
	v_fma_f64 v[228:229], v[228:229], v[230:231], v[22:23]
	ds_load_b128 v[230:233], v255 offset:18720
	ds_load_b128 v[242:245], v255 offset:20592
	s_wait_loadcnt_dscnt 0x1
	v_mul_f64_e32 v[0:1], v[232:233], v[236:237]
	v_mul_f64_e32 v[22:23], v[230:231], v[236:237]
	s_delay_alu instid0(VALU_DEP_2) | instskip(SKIP_2) | instid1(VALU_DEP_4)
	v_fma_f64 v[230:231], v[230:231], v[234:235], -v[0:1]
	v_mul_f64_e32 v[0:1], v[240:241], v[26:27]
	v_mul_f64_e32 v[26:27], v[238:239], v[26:27]
	v_fma_f64 v[232:233], v[232:233], v[234:235], v[22:23]
	s_delay_alu instid0(VALU_DEP_3) | instskip(NEXT) | instid1(VALU_DEP_3)
	v_fma_f64 v[22:23], v[238:239], v[24:25], -v[0:1]
	v_fma_f64 v[24:25], v[240:241], v[24:25], v[26:27]
	global_load_b128 v[26:29], v36, s[0:1] offset:20592
	s_wait_loadcnt_dscnt 0x0
	v_mul_f64_e32 v[0:1], v[244:245], v[28:29]
	v_mul_f64_e32 v[28:29], v[242:243], v[28:29]
	s_delay_alu instid0(VALU_DEP_2) | instskip(NEXT) | instid1(VALU_DEP_2)
	v_fma_f64 v[234:235], v[242:243], v[26:27], -v[0:1]
	v_fma_f64 v[236:237], v[244:245], v[26:27], v[28:29]
	ds_store_b128 v255, v[2:5]
	ds_store_b128 v255, v[6:9] offset:1872
	ds_store_b128 v255, v[14:17] offset:11232
	;; [unrolled: 1-line block ×11, first 2 shown]
	global_wb scope:SCOPE_SE
	s_wait_dscnt 0x0
	s_barrier_signal -1
	s_barrier_wait -1
	global_inv scope:SCOPE_SE
	ds_load_b128 v[0:3], v255 offset:11232
	ds_load_b128 v[4:7], v255
	ds_load_b128 v[8:11], v255 offset:1872
	ds_load_b128 v[12:15], v255 offset:13104
	;; [unrolled: 1-line block ×10, first 2 shown]
	global_wb scope:SCOPE_SE
	s_wait_dscnt 0x0
	s_barrier_signal -1
	s_barrier_wait -1
	global_inv scope:SCOPE_SE
	scratch_load_b32 v36, off, off offset:308 th:TH_LOAD_LU ; 4-byte Folded Reload
	v_add_f64_e64 v[0:1], v[4:5], -v[0:1]
	v_add_f64_e64 v[2:3], v[6:7], -v[2:3]
	s_delay_alu instid0(VALU_DEP_2) | instskip(NEXT) | instid1(VALU_DEP_2)
	v_fma_f64 v[4:5], v[4:5], 2.0, -v[0:1]
	v_fma_f64 v[6:7], v[6:7], 2.0, -v[2:3]
	s_wait_loadcnt 0x0
	ds_store_b128 v36, v[0:3] offset:16
	ds_store_b128 v36, v[4:7]
	v_add_f64_e64 v[0:1], v[8:9], -v[12:13]
	v_add_f64_e64 v[2:3], v[10:11], -v[14:15]
	s_delay_alu instid0(VALU_DEP_2)
	v_fma_f64 v[4:5], v[8:9], 2.0, -v[0:1]
	scratch_load_b32 v8, off, off offset:248 th:TH_LOAD_LU ; 4-byte Folded Reload
	v_fma_f64 v[6:7], v[10:11], 2.0, -v[2:3]
	s_wait_loadcnt 0x0
	ds_store_b128 v8, v[4:7]
	ds_store_b128 v8, v[0:3] offset:16
	scratch_load_b32 v8, off, off offset:240 th:TH_LOAD_LU ; 4-byte Folded Reload
	v_add_f64_e64 v[0:1], v[16:17], -v[24:25]
	v_add_f64_e64 v[2:3], v[18:19], -v[26:27]
	s_delay_alu instid0(VALU_DEP_2) | instskip(NEXT) | instid1(VALU_DEP_2)
	v_fma_f64 v[4:5], v[16:17], 2.0, -v[0:1]
	v_fma_f64 v[6:7], v[18:19], 2.0, -v[2:3]
	s_wait_loadcnt 0x0
	ds_store_b128 v8, v[4:7]
	ds_store_b128 v8, v[0:3] offset:16
	v_add_f64_e64 v[0:1], v[20:21], -v[28:29]
	v_add_f64_e64 v[2:3], v[22:23], -v[30:31]
	s_delay_alu instid0(VALU_DEP_2) | instskip(NEXT) | instid1(VALU_DEP_2)
	v_fma_f64 v[4:5], v[20:21], 2.0, -v[0:1]
	v_fma_f64 v[6:7], v[22:23], 2.0, -v[2:3]
	ds_store_b128 v140, v[4:7]
	ds_store_b128 v140, v[0:3] offset:16
	scratch_load_b32 v8, off, off offset:252 th:TH_LOAD_LU ; 4-byte Folded Reload
	v_add_f64_e64 v[0:1], v[32:33], -v[222:223]
	v_add_f64_e64 v[2:3], v[34:35], -v[224:225]
	s_delay_alu instid0(VALU_DEP_2) | instskip(NEXT) | instid1(VALU_DEP_2)
	v_fma_f64 v[4:5], v[32:33], 2.0, -v[0:1]
	v_fma_f64 v[6:7], v[34:35], 2.0, -v[2:3]
	s_wait_loadcnt 0x0
	ds_store_b128 v8, v[4:7]
	ds_store_b128 v8, v[0:3] offset:16
	scratch_load_b32 v8, off, off offset:296 th:TH_LOAD_LU ; 4-byte Folded Reload
	v_add_f64_e64 v[0:1], v[218:219], -v[226:227]
	v_add_f64_e64 v[2:3], v[220:221], -v[228:229]
	s_delay_alu instid0(VALU_DEP_2) | instskip(NEXT) | instid1(VALU_DEP_2)
	v_fma_f64 v[4:5], v[218:219], 2.0, -v[0:1]
	v_fma_f64 v[6:7], v[220:221], 2.0, -v[2:3]
	s_wait_loadcnt 0x0
	ds_store_b128 v8, v[4:7]
	ds_store_b128 v8, v[0:3] offset:16
	global_wb scope:SCOPE_SE
	s_wait_dscnt 0x0
	s_barrier_signal -1
	s_barrier_wait -1
	global_inv scope:SCOPE_SE
	ds_load_b128 v[0:3], v255 offset:16848
	ds_load_b128 v[4:7], v255 offset:14976
	s_wait_dscnt 0x1
	v_mul_f64_e32 v[8:9], v[62:63], v[2:3]
	s_delay_alu instid0(VALU_DEP_1) | instskip(SKIP_1) | instid1(VALU_DEP_1)
	v_fma_f64 v[28:29], v[60:61], v[0:1], v[8:9]
	v_mul_f64_e32 v[0:1], v[62:63], v[0:1]
	v_fma_f64 v[30:31], v[60:61], v[2:3], -v[0:1]
	ds_load_b128 v[0:3], v255 offset:11232
	ds_load_b128 v[8:11], v255 offset:13104
	s_wait_dscnt 0x1
	v_mul_f64_e32 v[12:13], v[58:59], v[2:3]
	s_delay_alu instid0(VALU_DEP_1) | instskip(SKIP_1) | instid1(VALU_DEP_1)
	v_fma_f64 v[12:13], v[56:57], v[0:1], v[12:13]
	v_mul_f64_e32 v[0:1], v[58:59], v[0:1]
	v_fma_f64 v[14:15], v[56:57], v[2:3], -v[0:1]
	v_mul_f64_e32 v[0:1], v[58:59], v[6:7]
	s_delay_alu instid0(VALU_DEP_1) | instskip(SKIP_1) | instid1(VALU_DEP_1)
	v_fma_f64 v[32:33], v[56:57], v[4:5], v[0:1]
	v_mul_f64_e32 v[0:1], v[58:59], v[4:5]
	v_fma_f64 v[34:35], v[56:57], v[6:7], -v[0:1]
	ds_load_b128 v[0:3], v255 offset:18720
	ds_load_b128 v[4:7], v255 offset:20592
	s_wait_dscnt 0x1
	v_mul_f64_e32 v[16:17], v[58:59], v[2:3]
	s_delay_alu instid0(VALU_DEP_1) | instskip(SKIP_1) | instid1(VALU_DEP_1)
	v_fma_f64 v[36:37], v[56:57], v[0:1], v[16:17]
	v_mul_f64_e32 v[0:1], v[58:59], v[0:1]
	v_fma_f64 v[38:39], v[56:57], v[2:3], -v[0:1]
	scratch_load_b64 v[2:3], off, off offset:216 th:TH_LOAD_LU ; 8-byte Folded Reload
	s_wait_loadcnt_dscnt 0x0
	v_mul_f64_e32 v[0:1], v[2:3], v[6:7]
	v_mul_f64_e32 v[2:3], v[2:3], v[4:5]
	s_delay_alu instid0(VALU_DEP_2)
	v_fma_f64 v[40:41], v[52:53], v[4:5], v[0:1]
	scratch_load_b64 v[4:5], off, off offset:300 th:TH_LOAD_LU ; 8-byte Folded Reload
	v_fma_f64 v[42:43], v[52:53], v[6:7], -v[2:3]
	v_mul_f64_e32 v[0:1], v[54:55], v[10:11]
	v_mul_f64_e32 v[2:3], v[54:55], v[8:9]
	s_wait_loadcnt 0x0
	s_delay_alu instid0(VALU_DEP_2) | instskip(NEXT) | instid1(VALU_DEP_2)
	v_fma_f64 v[44:45], v[4:5], v[8:9], v[0:1]
	v_fma_f64 v[46:47], v[4:5], v[10:11], -v[2:3]
	ds_load_b128 v[0:3], v255
	ds_load_b128 v[4:7], v255 offset:1872
	s_wait_dscnt 0x1
	v_add_f64_e64 v[8:9], v[0:1], -v[12:13]
	v_add_f64_e64 v[10:11], v[2:3], -v[14:15]
	ds_load_b128 v[12:15], v255 offset:3744
	ds_load_b128 v[16:19], v255 offset:5616
	ds_load_b128 v[20:23], v255 offset:7488
	ds_load_b128 v[24:27], v255 offset:9360
	global_wb scope:SCOPE_SE
	s_wait_dscnt 0x0
	s_barrier_signal -1
	s_barrier_wait -1
	global_inv scope:SCOPE_SE
	scratch_load_b32 v52, off, off offset:276 th:TH_LOAD_LU ; 4-byte Folded Reload
	v_fma_f64 v[0:1], v[0:1], 2.0, -v[8:9]
	v_fma_f64 v[2:3], v[2:3], 2.0, -v[10:11]
	s_wait_loadcnt 0x0
	ds_store_b128 v52, v[8:11] offset:32
	ds_store_b128 v52, v[0:3]
	scratch_load_b32 v8, off, off offset:272 th:TH_LOAD_LU ; 4-byte Folded Reload
	v_add_f64_e64 v[0:1], v[4:5], -v[44:45]
	v_add_f64_e64 v[2:3], v[6:7], -v[46:47]
	s_delay_alu instid0(VALU_DEP_2) | instskip(NEXT) | instid1(VALU_DEP_2)
	v_fma_f64 v[4:5], v[4:5], 2.0, -v[0:1]
	v_fma_f64 v[6:7], v[6:7], 2.0, -v[2:3]
	s_wait_loadcnt 0x0
	ds_store_b128 v8, v[4:7]
	ds_store_b128 v8, v[0:3] offset:32
	scratch_load_b32 v8, off, off offset:268 th:TH_LOAD_LU ; 4-byte Folded Reload
	v_add_f64_e64 v[0:1], v[12:13], -v[32:33]
	v_add_f64_e64 v[2:3], v[14:15], -v[34:35]
	s_delay_alu instid0(VALU_DEP_2) | instskip(NEXT) | instid1(VALU_DEP_2)
	v_fma_f64 v[4:5], v[12:13], 2.0, -v[0:1]
	v_fma_f64 v[6:7], v[14:15], 2.0, -v[2:3]
	s_wait_loadcnt 0x0
	ds_store_b128 v8, v[4:7]
	ds_store_b128 v8, v[0:3] offset:32
	;; [unrolled: 9-line block ×5, first 2 shown]
	global_wb scope:SCOPE_SE
	s_wait_dscnt 0x0
	s_barrier_signal -1
	s_barrier_wait -1
	global_inv scope:SCOPE_SE
	ds_load_b128 v[0:3], v255 offset:7488
	ds_load_b128 v[4:7], v255 offset:9360
	s_wait_dscnt 0x1
	v_mul_f64_e32 v[8:9], v[82:83], v[2:3]
	s_delay_alu instid0(VALU_DEP_1) | instskip(SKIP_1) | instid1(VALU_DEP_1)
	v_fma_f64 v[12:13], v[80:81], v[0:1], v[8:9]
	v_mul_f64_e32 v[0:1], v[82:83], v[0:1]
	v_fma_f64 v[14:15], v[80:81], v[2:3], -v[0:1]
	ds_load_b128 v[0:3], v255 offset:14976
	ds_load_b128 v[8:11], v255 offset:16848
	s_wait_dscnt 0x1
	v_mul_f64_e32 v[16:17], v[66:67], v[2:3]
	s_delay_alu instid0(VALU_DEP_1) | instskip(SKIP_1) | instid1(VALU_DEP_1)
	v_fma_f64 v[16:17], v[64:65], v[0:1], v[16:17]
	v_mul_f64_e32 v[0:1], v[66:67], v[0:1]
	v_fma_f64 v[18:19], v[64:65], v[2:3], -v[0:1]
	v_mul_f64_e32 v[0:1], v[94:95], v[6:7]
	s_delay_alu instid0(VALU_DEP_2) | instskip(NEXT) | instid1(VALU_DEP_2)
	v_add_f64_e32 v[42:43], v[14:15], v[18:19]
	v_fma_f64 v[20:21], v[92:93], v[4:5], v[0:1]
	v_mul_f64_e32 v[0:1], v[94:95], v[4:5]
	s_delay_alu instid0(VALU_DEP_1) | instskip(SKIP_2) | instid1(VALU_DEP_1)
	v_fma_f64 v[22:23], v[92:93], v[6:7], -v[0:1]
	s_wait_dscnt 0x0
	v_mul_f64_e32 v[0:1], v[90:91], v[10:11]
	v_fma_f64 v[24:25], v[88:89], v[8:9], v[0:1]
	v_mul_f64_e32 v[0:1], v[90:91], v[8:9]
	s_delay_alu instid0(VALU_DEP_1) | instskip(SKIP_4) | instid1(VALU_DEP_1)
	v_fma_f64 v[26:27], v[88:89], v[10:11], -v[0:1]
	ds_load_b128 v[0:3], v255 offset:11232
	ds_load_b128 v[4:7], v255 offset:13104
	s_wait_dscnt 0x1
	v_mul_f64_e32 v[8:9], v[86:87], v[2:3]
	v_fma_f64 v[28:29], v[84:85], v[0:1], v[8:9]
	v_mul_f64_e32 v[0:1], v[86:87], v[0:1]
	s_delay_alu instid0(VALU_DEP_1) | instskip(SKIP_4) | instid1(VALU_DEP_1)
	v_fma_f64 v[30:31], v[84:85], v[2:3], -v[0:1]
	ds_load_b128 v[0:3], v255 offset:18720
	ds_load_b128 v[8:11], v255 offset:20592
	s_wait_dscnt 0x1
	v_mul_f64_e32 v[32:33], v[74:75], v[2:3]
	v_fma_f64 v[32:33], v[72:73], v[0:1], v[32:33]
	v_mul_f64_e32 v[0:1], v[74:75], v[0:1]
	s_delay_alu instid0(VALU_DEP_1) | instskip(SKIP_1) | instid1(VALU_DEP_1)
	v_fma_f64 v[34:35], v[72:73], v[2:3], -v[0:1]
	v_mul_f64_e32 v[0:1], v[78:79], v[6:7]
	v_fma_f64 v[36:37], v[76:77], v[4:5], v[0:1]
	v_mul_f64_e32 v[0:1], v[78:79], v[4:5]
	s_delay_alu instid0(VALU_DEP_1) | instskip(SKIP_2) | instid1(VALU_DEP_1)
	v_fma_f64 v[38:39], v[76:77], v[6:7], -v[0:1]
	s_wait_dscnt 0x0
	v_mul_f64_e32 v[0:1], v[70:71], v[10:11]
	v_fma_f64 v[40:41], v[68:69], v[8:9], v[0:1]
	v_mul_f64_e32 v[0:1], v[70:71], v[8:9]
	s_delay_alu instid0(VALU_DEP_1)
	v_fma_f64 v[8:9], v[68:69], v[10:11], -v[0:1]
	v_add_f64_e32 v[10:11], v[12:13], v[16:17]
	ds_load_b128 v[0:3], v255
	ds_load_b128 v[4:7], v255 offset:1872
	s_wait_dscnt 0x1
	v_fma_f64 v[42:43], v[42:43], -0.5, v[2:3]
	v_add_f64_e32 v[2:3], v[2:3], v[14:15]
	v_add_f64_e64 v[14:15], v[14:15], -v[18:19]
	v_fma_f64 v[10:11], v[10:11], -0.5, v[0:1]
	v_add_f64_e32 v[0:1], v[0:1], v[12:13]
	s_delay_alu instid0(VALU_DEP_4) | instskip(SKIP_1) | instid1(VALU_DEP_4)
	v_add_f64_e32 v[54:55], v[2:3], v[18:19]
	v_add_f64_e32 v[2:3], v[22:23], v[26:27]
	v_fma_f64 v[60:61], v[14:15], s[12:13], v[10:11]
	s_delay_alu instid0(VALU_DEP_4)
	v_add_f64_e32 v[52:53], v[0:1], v[16:17]
	v_add_f64_e64 v[0:1], v[12:13], -v[16:17]
	v_fma_f64 v[56:57], v[14:15], s[14:15], v[10:11]
	v_add_f64_e64 v[10:11], v[22:23], -v[26:27]
	v_add_f64_e32 v[12:13], v[30:31], v[34:35]
	v_add_f64_e64 v[14:15], v[30:31], -v[34:35]
	s_wait_dscnt 0x0
	v_fma_f64 v[2:3], v[2:3], -0.5, v[6:7]
	v_add_f64_e32 v[6:7], v[6:7], v[22:23]
	v_fma_f64 v[62:63], v[0:1], s[14:15], v[42:43]
	v_fma_f64 v[58:59], v[0:1], s[12:13], v[42:43]
	v_add_f64_e32 v[0:1], v[20:21], v[24:25]
	s_delay_alu instid0(VALU_DEP_4) | instskip(NEXT) | instid1(VALU_DEP_2)
	v_add_f64_e32 v[66:67], v[6:7], v[26:27]
	v_fma_f64 v[0:1], v[0:1], -0.5, v[4:5]
	v_add_f64_e32 v[4:5], v[4:5], v[20:21]
	s_delay_alu instid0(VALU_DEP_2) | instskip(NEXT) | instid1(VALU_DEP_2)
	v_fma_f64 v[68:69], v[10:11], s[12:13], v[0:1]
	v_add_f64_e32 v[64:65], v[4:5], v[24:25]
	v_add_f64_e64 v[4:5], v[20:21], -v[24:25]
	v_fma_f64 v[72:73], v[10:11], s[14:15], v[0:1]
	v_add_f64_e32 v[10:11], v[28:29], v[32:33]
	s_delay_alu instid0(VALU_DEP_3)
	v_fma_f64 v[70:71], v[4:5], s[14:15], v[2:3]
	v_fma_f64 v[74:75], v[4:5], s[12:13], v[2:3]
	ds_load_b128 v[0:3], v255 offset:3744
	ds_load_b128 v[4:7], v255 offset:5616
	global_wb scope:SCOPE_SE
	s_wait_dscnt 0x0
	s_barrier_signal -1
	s_barrier_wait -1
	global_inv scope:SCOPE_SE
	v_fma_f64 v[10:11], v[10:11], -0.5, v[0:1]
	v_add_f64_e32 v[0:1], v[0:1], v[28:29]
	v_fma_f64 v[12:13], v[12:13], -0.5, v[2:3]
	v_add_f64_e32 v[2:3], v[2:3], v[30:31]
	s_delay_alu instid0(VALU_DEP_4) | instskip(NEXT) | instid1(VALU_DEP_4)
	v_fma_f64 v[84:85], v[14:15], s[12:13], v[10:11]
	v_add_f64_e32 v[76:77], v[0:1], v[32:33]
	v_add_f64_e64 v[0:1], v[28:29], -v[32:33]
	s_delay_alu instid0(VALU_DEP_4)
	v_add_f64_e32 v[78:79], v[2:3], v[34:35]
	v_add_f64_e32 v[2:3], v[38:39], v[8:9]
	v_fma_f64 v[80:81], v[14:15], s[14:15], v[10:11]
	v_add_f64_e64 v[10:11], v[38:39], -v[8:9]
	v_fma_f64 v[86:87], v[0:1], s[14:15], v[12:13]
	v_fma_f64 v[82:83], v[0:1], s[12:13], v[12:13]
	v_add_f64_e32 v[0:1], v[36:37], v[40:41]
	v_fma_f64 v[2:3], v[2:3], -0.5, v[6:7]
	v_add_f64_e32 v[6:7], v[6:7], v[38:39]
	s_delay_alu instid0(VALU_DEP_3) | instskip(SKIP_1) | instid1(VALU_DEP_3)
	v_fma_f64 v[0:1], v[0:1], -0.5, v[4:5]
	v_add_f64_e32 v[4:5], v[4:5], v[36:37]
	v_add_f64_e32 v[90:91], v[6:7], v[8:9]
	s_delay_alu instid0(VALU_DEP_3) | instskip(NEXT) | instid1(VALU_DEP_3)
	v_fma_f64 v[92:93], v[10:11], s[12:13], v[0:1]
	v_add_f64_e32 v[88:89], v[4:5], v[40:41]
	v_add_f64_e64 v[4:5], v[36:37], -v[40:41]
	v_fma_f64 v[208:209], v[10:11], s[14:15], v[0:1]
	s_delay_alu instid0(VALU_DEP_2)
	v_fma_f64 v[94:95], v[4:5], s[14:15], v[2:3]
	v_fma_f64 v[210:211], v[4:5], s[12:13], v[2:3]
	ds_store_b128 v212, v[52:55]
	ds_store_b128 v212, v[60:63] offset:64
	ds_store_b128 v212, v[56:59] offset:128
	ds_store_b128 v213, v[64:67]
	ds_store_b128 v213, v[68:71] offset:64
	ds_store_b128 v213, v[72:75] offset:128
	;; [unrolled: 3-line block ×4, first 2 shown]
	global_wb scope:SCOPE_SE
	s_wait_dscnt 0x0
	s_barrier_signal -1
	s_barrier_wait -1
	global_inv scope:SCOPE_SE
	s_and_saveexec_b32 s0, vcc_lo
	s_cbranch_execz .LBB0_7
; %bb.6:
	ds_load_b128 v[52:55], v255
	ds_load_b128 v[60:63], v255 offset:1728
	ds_load_b128 v[56:59], v255 offset:3456
	;; [unrolled: 1-line block ×12, first 2 shown]
	s_wait_dscnt 0x0
	scratch_store_b128 off, v[0:3], off     ; 16-byte Folded Spill
.LBB0_7:
	s_wait_alu 0xfffe
	s_or_b32 exec_lo, exec_lo, s0
	global_wb scope:SCOPE_SE
	s_wait_storecnt 0x0
	s_barrier_signal -1
	s_barrier_wait -1
	global_inv scope:SCOPE_SE
	s_and_saveexec_b32 s33, vcc_lo
	s_cbranch_execz .LBB0_9
; %bb.8:
	v_mul_f64_e32 v[0:1], v[134:135], v[78:79]
	v_mul_f64_e32 v[4:5], v[130:131], v[82:83]
	;; [unrolled: 1-line block ×3, first 2 shown]
	scratch_load_b128 v[6:9], off, off th:TH_LOAD_LU ; 16-byte Folded Reload
	s_mov_b32 s35, 0x3fddbe06
	s_mov_b32 s34, 0x4267c47c
	;; [unrolled: 1-line block ×14, first 2 shown]
	s_wait_alu 0xfffe
	s_mov_b32 s30, s26
	s_mov_b32 s28, s24
	;; [unrolled: 1-line block ×16, first 2 shown]
	v_fma_f64 v[48:49], v[132:133], v[76:77], v[0:1]
	v_mul_f64_e32 v[0:1], v[134:135], v[76:77]
	v_fma_f64 v[2:3], v[172:173], v[62:63], -v[2:3]
	s_delay_alu instid0(VALU_DEP_2) | instskip(SKIP_1) | instid1(VALU_DEP_1)
	v_fma_f64 v[36:37], v[132:133], v[78:79], -v[0:1]
	v_mul_f64_e32 v[0:1], v[138:139], v[86:87]
	v_fma_f64 v[50:51], v[136:137], v[84:85], v[0:1]
	v_mul_f64_e32 v[0:1], v[138:139], v[84:85]
	s_delay_alu instid0(VALU_DEP_1) | instskip(SKIP_1) | instid1(VALU_DEP_1)
	v_fma_f64 v[18:19], v[136:137], v[86:87], -v[0:1]
	v_mul_f64_e32 v[0:1], v[126:127], v[74:75]
	v_fma_f64 v[12:13], v[124:125], v[72:73], v[0:1]
	v_mul_f64_e32 v[0:1], v[126:127], v[72:73]
	s_delay_alu instid0(VALU_DEP_1) | instskip(SKIP_1) | instid1(VALU_DEP_2)
	v_fma_f64 v[20:21], v[124:125], v[74:75], -v[0:1]
	v_mul_f64_e32 v[0:1], v[174:175], v[62:63]
	v_dual_mov_b32 v63, v21 :: v_dual_mov_b32 v62, v20
	s_delay_alu instid0(VALU_DEP_2) | instskip(SKIP_2) | instid1(VALU_DEP_1)
	v_fma_f64 v[0:1], v[172:173], v[60:61], v[0:1]
	v_fma_f64 v[60:61], v[128:129], v[80:81], v[4:5]
	v_mul_f64_e32 v[4:5], v[130:131], v[80:81]
	v_fma_f64 v[22:23], v[128:129], v[82:83], -v[4:5]
	v_mul_f64_e32 v[4:5], v[118:119], v[70:71]
	s_delay_alu instid0(VALU_DEP_1) | instskip(SKIP_1) | instid1(VALU_DEP_1)
	v_fma_f64 v[26:27], v[116:117], v[68:69], v[4:5]
	v_mul_f64_e32 v[4:5], v[118:119], v[68:69]
	v_fma_f64 v[74:75], v[116:117], v[70:71], -v[4:5]
	v_mul_f64_e32 v[4:5], v[122:123], v[90:91]
	s_delay_alu instid0(VALU_DEP_4) | instskip(NEXT) | instid1(VALU_DEP_2)
	v_dual_mov_b32 v71, v27 :: v_dual_mov_b32 v70, v26
	v_fma_f64 v[24:25], v[120:121], v[88:89], v[4:5]
	v_mul_f64_e32 v[4:5], v[122:123], v[88:89]
	s_delay_alu instid0(VALU_DEP_1) | instskip(SKIP_1) | instid1(VALU_DEP_2)
	v_fma_f64 v[68:69], v[120:121], v[90:91], -v[4:5]
	v_mul_f64_e32 v[4:5], v[110:111], v[66:67]
	v_add_f64_e32 v[220:221], v[74:75], v[68:69]
	s_delay_alu instid0(VALU_DEP_2) | instskip(SKIP_2) | instid1(VALU_DEP_2)
	v_fma_f64 v[140:141], v[108:109], v[64:65], v[4:5]
	v_mul_f64_e32 v[4:5], v[110:111], v[64:65]
	v_dual_mov_b32 v65, v23 :: v_dual_mov_b32 v64, v22
	v_fma_f64 v[84:85], v[108:109], v[66:67], -v[4:5]
	v_mul_f64_e32 v[4:5], v[114:115], v[94:95]
	v_dual_mov_b32 v67, v25 :: v_dual_mov_b32 v66, v24
	s_delay_alu instid0(VALU_DEP_1)
	v_dual_mov_b32 v79, v67 :: v_dual_mov_b32 v78, v66
	v_add_f64_e64 v[14:15], v[70:71], -v[66:67]
	v_add_f64_e32 v[222:223], v[70:71], v[66:67]
	v_dual_mov_b32 v67, v61 :: v_dual_mov_b32 v66, v60
	v_fma_f64 v[72:73], v[112:113], v[92:93], v[4:5]
	v_mul_f64_e32 v[4:5], v[114:115], v[92:93]
	s_wait_alu 0xfffe
	v_mul_f64_e32 v[244:245], s[36:37], v[14:15]
	s_delay_alu instid0(VALU_DEP_3) | instskip(NEXT) | instid1(VALU_DEP_3)
	v_add_f64_e32 v[218:219], v[140:141], v[72:73]
	v_fma_f64 v[76:77], v[112:113], v[94:95], -v[4:5]
	v_mul_f64_e32 v[4:5], v[102:103], v[58:59]
	s_delay_alu instid0(VALU_DEP_2) | instskip(NEXT) | instid1(VALU_DEP_2)
	v_add_f64_e64 v[94:95], v[84:85], -v[76:77]
	v_fma_f64 v[86:87], v[100:101], v[56:57], v[4:5]
	v_mul_f64_e32 v[4:5], v[102:103], v[56:57]
	v_dual_mov_b32 v57, v19 :: v_dual_mov_b32 v56, v18
	v_mul_f64_e32 v[102:103], s[34:35], v[14:15]
	v_add_f64_e32 v[212:213], v[84:85], v[76:77]
	s_delay_alu instid0(VALU_DEP_3)
	v_add_f64_e64 v[10:11], v[36:37], -v[56:57]
	v_add_f64_e32 v[234:235], v[36:37], v[56:57]
	v_mul_f64_e32 v[108:109], s[34:35], v[94:95]
	v_mul_f64_e32 v[242:243], s[18:19], v[94:95]
	v_fma_f64 v[90:91], v[100:101], v[58:59], -v[4:5]
	v_mul_f64_e32 v[4:5], v[106:107], v[210:211]
	v_dual_mov_b32 v59, v13 :: v_dual_mov_b32 v58, v12
	v_add_f64_e64 v[12:13], v[74:75], -v[68:69]
	v_mul_f64_e32 v[18:19], s[34:35], v[10:11]
	v_mul_f64_e32 v[240:241], s[24:25], v[10:11]
	v_fma_f64 v[92:93], v[104:105], v[208:209], v[4:5]
	v_mul_f64_e32 v[4:5], v[106:107], v[208:209]
	v_mul_f64_e32 v[142:143], s[36:37], v[12:13]
	s_delay_alu instid0(VALU_DEP_3) | instskip(NEXT) | instid1(VALU_DEP_3)
	v_add_f64_e64 v[100:101], v[86:87], -v[92:93]
	v_fma_f64 v[80:81], v[104:105], v[210:211], -v[4:5]
	s_wait_loadcnt 0x0
	v_mul_f64_e32 v[4:5], v[98:99], v[8:9]
	v_mul_f64_e32 v[104:105], s[34:35], v[12:13]
	v_add_f64_e32 v[210:211], v[86:87], v[92:93]
	v_mul_f64_e32 v[20:21], s[34:35], v[100:101]
	v_add_f64_e32 v[208:209], v[90:91], v[80:81]
	v_fma_f64 v[88:89], v[96:97], v[6:7], v[4:5]
	v_mul_f64_e32 v[4:5], v[98:99], v[6:7]
	v_add_f64_e64 v[98:99], v[90:91], -v[80:81]
	v_add_f64_e64 v[6:7], v[48:49], -v[50:51]
	s_delay_alu instid0(VALU_DEP_4) | instskip(NEXT) | instid1(VALU_DEP_4)
	v_add_f64_e64 v[24:25], v[0:1], -v[88:89]
	v_fma_f64 v[82:83], v[96:97], v[8:9], -v[4:5]
	v_add_f64_e64 v[8:9], v[58:59], -v[60:61]
	v_add_f64_e64 v[4:5], v[62:63], -v[64:65]
	;; [unrolled: 1-line block ×3, first 2 shown]
	v_mul_f64_e32 v[22:23], s[34:35], v[98:99]
	v_mul_f64_e32 v[16:17], s[34:35], v[6:7]
	v_add_f64_e32 v[128:129], v[0:1], v[88:89]
	v_add_f64_e32 v[0:1], v[52:53], v[0:1]
	v_mul_f64_e32 v[236:237], s[24:25], v[6:7]
	v_mul_f64_e32 v[252:253], s[18:19], v[98:99]
	;; [unrolled: 1-line block ×7, first 2 shown]
	s_mov_b32 s35, 0xbfddbe06
	v_mul_f64_e32 v[34:35], s[20:21], v[24:25]
	v_mul_f64_e32 v[38:39], s[28:29], v[24:25]
	;; [unrolled: 1-line block ×3, first 2 shown]
	s_wait_alu 0xfffe
	v_mul_f64_e32 v[24:25], s[34:35], v[24:25]
	v_add_f64_e32 v[42:43], v[2:3], v[82:83]
	v_mul_f64_e32 v[226:227], s[20:21], v[8:9]
	v_mul_f64_e32 v[230:231], s[20:21], v[4:5]
	;; [unrolled: 1-line block ×4, first 2 shown]
	s_clause 0x1
	scratch_store_b64 off, v[82:83], off
	scratch_store_b64 off, v[0:1], off offset:240
	v_fma_f64 v[44:45], v[42:43], s[14:15], v[26:27]
	v_fma_f64 v[26:27], v[42:43], s[14:15], -v[26:27]
	v_fma_f64 v[46:47], v[42:43], s[8:9], v[32:33]
	v_fma_f64 v[32:33], v[42:43], s[8:9], -v[32:33]
	;; [unrolled: 2-line block ×6, first 2 shown]
	v_add_f64_e64 v[42:43], v[2:3], -v[82:83]
	v_add_f64_e32 v[2:3], v[54:55], v[2:3]
	scratch_store_b64 off, v[88:89], off offset:216 ; 8-byte Folded Spill
	v_dual_mov_b32 v83, v73 :: v_dual_mov_b32 v82, v72
	v_dual_mov_b32 v73, v65 :: v_dual_mov_b32 v72, v64
	;; [unrolled: 1-line block ×4, first 2 shown]
	v_add_f64_e32 v[0:1], v[54:55], v[44:45]
	v_add_f64_e32 v[26:27], v[54:55], v[26:27]
	;; [unrolled: 1-line block ×9, first 2 shown]
	v_dual_mov_b32 v117, v81 :: v_dual_mov_b32 v116, v80
	v_mul_f64_e32 v[118:119], s[18:19], v[42:43]
	v_mul_f64_e32 v[122:123], s[20:21], v[42:43]
	;; [unrolled: 1-line block ×4, first 2 shown]
	scratch_store_b64 off, v[2:3], off offset:232 ; 8-byte Folded Spill
	v_mul_f64_e32 v[120:121], s[16:17], v[42:43]
	v_mul_f64_e32 v[42:43], s[34:35], v[42:43]
	s_mov_b32 s35, 0x3fcea1e5
	s_mov_b32 s34, s18
	v_dual_mov_b32 v81, v69 :: v_dual_mov_b32 v80, v68
	v_dual_mov_b32 v69, v63 :: v_dual_mov_b32 v68, v62
	v_fma_f64 v[130:131], v[128:129], s[14:15], -v[118:119]
	v_fma_f64 v[134:135], v[128:129], s[0:1], -v[122:123]
	;; [unrolled: 1-line block ×3, first 2 shown]
	v_fma_f64 v[124:125], v[128:129], s[10:11], v[124:125]
	v_fma_f64 v[138:139], v[128:129], s[12:13], -v[126:127]
	v_fma_f64 v[118:119], v[128:129], s[14:15], v[118:119]
	v_fma_f64 v[132:133], v[128:129], s[8:9], -v[120:121]
	v_fma_f64 v[120:121], v[128:129], s[8:9], v[120:121]
	v_fma_f64 v[122:123], v[128:129], s[0:1], v[122:123]
	;; [unrolled: 1-line block ×4, first 2 shown]
	v_fma_f64 v[42:43], v[128:129], s[22:23], -v[42:43]
	v_add_f64_e32 v[2:3], v[52:53], v[130:131]
	v_add_f64_e32 v[130:131], v[52:53], v[134:135]
	;; [unrolled: 1-line block ×6, first 2 shown]
	v_fma_f64 v[24:25], v[208:209], s[22:23], v[20:21]
	v_add_f64_e32 v[44:45], v[52:53], v[118:119]
	v_add_f64_e32 v[118:119], v[52:53], v[132:133]
	v_add_f64_e32 v[132:133], v[54:55], v[34:35]
	v_add_f64_e32 v[120:121], v[52:53], v[120:121]
	v_add_f64_e32 v[122:123], v[52:53], v[122:123]
	v_add_f64_e32 v[136:137], v[52:53], v[136:137]
	v_add_f64_e32 v[126:127], v[52:53], v[126:127]
	v_add_f64_e32 v[172:173], v[52:53], v[172:173]
	v_add_f64_e32 v[128:129], v[52:53], v[42:43]
	v_fma_f64 v[20:21], v[208:209], s[22:23], -v[20:21]
	v_dual_mov_b32 v42, v50 :: v_dual_mov_b32 v43, v51
	v_add_f64_e32 v[0:1], v[24:25], v[0:1]
	v_fma_f64 v[24:25], v[210:211], s[22:23], -v[22:23]
	v_fma_f64 v[22:23], v[210:211], s[22:23], v[22:23]
	v_add_f64_e32 v[20:21], v[20:21], v[26:27]
	s_delay_alu instid0(VALU_DEP_3) | instskip(SKIP_1) | instid1(VALU_DEP_4)
	v_add_f64_e32 v[2:3], v[24:25], v[2:3]
	v_mul_f64_e32 v[24:25], s[16:17], v[96:97]
	v_add_f64_e32 v[22:23], v[22:23], v[44:45]
	v_mul_f64_e32 v[44:45], s[24:25], v[98:99]
	s_delay_alu instid0(VALU_DEP_3) | instskip(SKIP_1) | instid1(VALU_DEP_2)
	v_fma_f64 v[34:35], v[212:213], s[8:9], v[24:25]
	v_fma_f64 v[24:25], v[212:213], s[8:9], -v[24:25]
	v_add_f64_e32 v[0:1], v[34:35], v[0:1]
	v_mul_f64_e32 v[34:35], s[16:17], v[94:95]
	s_delay_alu instid0(VALU_DEP_3) | instskip(NEXT) | instid1(VALU_DEP_2)
	v_add_f64_e32 v[20:21], v[24:25], v[20:21]
	v_fma_f64 v[52:53], v[218:219], s[8:9], -v[34:35]
	v_fma_f64 v[24:25], v[218:219], s[8:9], v[34:35]
	v_mul_f64_e32 v[34:35], s[24:25], v[100:101]
	s_mov_b32 s25, 0x3fedeba7
	s_mov_b32 s24, s20
	s_wait_alu 0xfffe
	v_mul_f64_e32 v[215:216], s[24:25], v[96:97]
	v_mul_f64_e32 v[140:141], s[24:25], v[94:95]
	v_add_f64_e32 v[2:3], v[52:53], v[2:3]
	v_mul_f64_e32 v[52:53], s[26:27], v[14:15]
	v_add_f64_e32 v[22:23], v[24:25], v[22:23]
	s_delay_alu instid0(VALU_DEP_2) | instskip(SKIP_1) | instid1(VALU_DEP_2)
	v_fma_f64 v[54:55], v[220:221], s[12:13], v[52:53]
	v_fma_f64 v[24:25], v[220:221], s[12:13], -v[52:53]
	v_add_f64_e32 v[0:1], v[54:55], v[0:1]
	v_mul_f64_e32 v[54:55], s[26:27], v[12:13]
	s_delay_alu instid0(VALU_DEP_3) | instskip(NEXT) | instid1(VALU_DEP_2)
	v_add_f64_e32 v[20:21], v[24:25], v[20:21]
	v_fma_f64 v[224:225], v[222:223], s[12:13], -v[54:55]
	v_fma_f64 v[24:25], v[222:223], s[12:13], v[54:55]
	s_delay_alu instid0(VALU_DEP_2) | instskip(SKIP_1) | instid1(VALU_DEP_3)
	v_add_f64_e32 v[2:3], v[224:225], v[2:3]
	v_add_f64_e32 v[224:225], v[62:63], v[64:65]
	;; [unrolled: 1-line block ×3, first 2 shown]
	v_dual_mov_b32 v65, v59 :: v_dual_mov_b32 v64, v58
	v_dual_mov_b32 v63, v57 :: v_dual_mov_b32 v62, v56
	s_delay_alu instid0(VALU_DEP_4) | instskip(SKIP_1) | instid1(VALU_DEP_2)
	v_fma_f64 v[228:229], v[224:225], s[0:1], v[226:227]
	v_fma_f64 v[24:25], v[224:225], s[0:1], -v[226:227]
	v_add_f64_e32 v[0:1], v[228:229], v[0:1]
	v_add_f64_e32 v[228:229], v[58:59], v[60:61]
	v_dual_mov_b32 v61, v37 :: v_dual_mov_b32 v60, v36
	v_dual_mov_b32 v36, v48 :: v_dual_mov_b32 v37, v49
	v_add_f64_e32 v[20:21], v[24:25], v[20:21]
	v_mul_f64_e32 v[48:49], s[30:31], v[8:9]
	s_delay_alu instid0(VALU_DEP_3)
	v_add_f64_e32 v[238:239], v[36:37], v[50:51]
	v_fma_f64 v[24:25], v[228:229], s[0:1], v[230:231]
	v_fma_f64 v[232:233], v[228:229], s[0:1], -v[230:231]
	v_mul_f64_e32 v[230:231], s[20:21], v[6:7]
	v_fma_f64 v[50:51], v[224:225], s[12:13], -v[48:49]
	v_fma_f64 v[26:27], v[238:239], s[10:11], v[240:241]
	v_add_f64_e32 v[24:25], v[24:25], v[22:23]
	v_fma_f64 v[22:23], v[234:235], s[10:11], -v[236:237]
	v_add_f64_e32 v[232:233], v[232:233], v[2:3]
	v_fma_f64 v[2:3], v[234:235], s[10:11], v[236:237]
	v_mul_f64_e32 v[236:237], s[20:21], v[100:101]
	s_delay_alu instid0(VALU_DEP_4)
	v_add_f64_e32 v[22:23], v[22:23], v[20:21]
	v_add_f64_e32 v[20:21], v[26:27], v[24:25]
	v_fma_f64 v[24:25], v[208:209], s[10:11], v[34:35]
	v_fma_f64 v[26:27], v[210:211], s[10:11], -v[44:45]
	v_fma_f64 v[34:35], v[208:209], s[10:11], -v[34:35]
	v_add_f64_e32 v[58:59], v[2:3], v[0:1]
	v_fma_f64 v[0:1], v[238:239], s[10:11], -v[240:241]
	v_mul_f64_e32 v[240:241], s[20:21], v[98:99]
	v_add_f64_e32 v[24:25], v[24:25], v[46:47]
	v_mul_f64_e32 v[46:47], s[30:31], v[96:97]
	v_add_f64_e32 v[26:27], v[26:27], v[118:119]
	v_add_f64_e32 v[32:33], v[34:35], v[32:33]
	v_fma_f64 v[34:35], v[210:211], s[10:11], v[44:45]
	v_add_f64_e32 v[56:57], v[0:1], v[232:233]
	v_mul_f64_e32 v[232:233], s[20:21], v[10:11]
	v_dual_mov_b32 v0, v200 :: v_dual_mov_b32 v1, v201
	v_dual_mov_b32 v2, v202 :: v_dual_mov_b32 v3, v203
	;; [unrolled: 1-line block ×16, first 2 shown]
	v_fma_f64 v[52:53], v[212:213], s[12:13], v[46:47]
	v_fma_f64 v[44:45], v[212:213], s[12:13], -v[46:47]
	v_mul_f64_e32 v[46:47], s[36:37], v[98:99]
	v_add_f64_e32 v[34:35], v[34:35], v[120:121]
	v_mul_f64_e32 v[120:121], s[28:29], v[12:13]
	v_dual_mov_b32 v159, v154 :: v_dual_mov_b32 v158, v153
	v_dual_mov_b32 v157, v152 :: v_dual_mov_b32 v156, v151
	;; [unrolled: 1-line block ×4, first 2 shown]
	v_mul_f64_e32 v[144:145], s[16:17], v[6:7]
	v_add_f64_e32 v[24:25], v[52:53], v[24:25]
	v_mul_f64_e32 v[52:53], s[30:31], v[94:95]
	v_add_f64_e32 v[32:33], v[44:45], v[32:33]
	s_delay_alu instid0(VALU_DEP_2) | instskip(SKIP_3) | instid1(VALU_DEP_4)
	v_fma_f64 v[54:55], v[218:219], s[12:13], -v[52:53]
	v_fma_f64 v[44:45], v[218:219], s[12:13], v[52:53]
	v_fma_f64 v[52:53], v[212:213], s[22:23], v[106:107]
	v_fma_f64 v[106:107], v[212:213], s[22:23], -v[106:107]
	v_add_f64_e32 v[26:27], v[54:55], v[26:27]
	v_mul_f64_e32 v[54:55], s[34:35], v[14:15]
	v_add_f64_e32 v[34:35], v[44:45], v[34:35]
	s_delay_alu instid0(VALU_DEP_2) | instskip(SKIP_1) | instid1(VALU_DEP_2)
	v_fma_f64 v[118:119], v[220:221], s[14:15], v[54:55]
	v_fma_f64 v[44:45], v[220:221], s[14:15], -v[54:55]
	v_add_f64_e32 v[24:25], v[118:119], v[24:25]
	v_mul_f64_e32 v[118:119], s[34:35], v[12:13]
	s_delay_alu instid0(VALU_DEP_3) | instskip(SKIP_1) | instid1(VALU_DEP_3)
	v_add_f64_e32 v[32:33], v[44:45], v[32:33]
	v_mul_f64_e32 v[12:13], s[20:21], v[12:13]
	v_fma_f64 v[226:227], v[222:223], s[14:15], -v[118:119]
	v_fma_f64 v[44:45], v[222:223], s[14:15], v[118:119]
	v_mul_f64_e32 v[118:119], s[28:29], v[14:15]
	v_mul_f64_e32 v[14:15], s[20:21], v[14:15]
	s_delay_alu instid0(VALU_DEP_4) | instskip(SKIP_4) | instid1(VALU_DEP_4)
	v_add_f64_e32 v[26:27], v[226:227], v[26:27]
	v_fma_f64 v[226:227], v[224:225], s[22:23], v[28:29]
	v_add_f64_e32 v[34:35], v[44:45], v[34:35]
	v_fma_f64 v[28:29], v[224:225], s[22:23], -v[28:29]
	v_mul_f64_e32 v[44:45], s[36:37], v[100:101]
	v_add_f64_e32 v[24:25], v[226:227], v[24:25]
	v_fma_f64 v[226:227], v[228:229], s[22:23], -v[30:31]
	v_fma_f64 v[30:31], v[228:229], s[22:23], v[30:31]
	v_add_f64_e32 v[28:29], v[28:29], v[32:33]
	s_delay_alu instid0(VALU_DEP_3) | instskip(NEXT) | instid1(VALU_DEP_3)
	v_add_f64_e32 v[226:227], v[226:227], v[26:27]
	v_add_f64_e32 v[32:33], v[30:31], v[34:35]
	v_fma_f64 v[30:31], v[234:235], s[0:1], -v[230:231]
	v_fma_f64 v[34:35], v[238:239], s[0:1], v[232:233]
	v_fma_f64 v[26:27], v[234:235], s[0:1], v[230:231]
	v_mul_f64_e32 v[230:231], s[26:27], v[6:7]
	s_delay_alu instid0(VALU_DEP_4) | instskip(NEXT) | instid1(VALU_DEP_4)
	v_add_f64_e32 v[30:31], v[30:31], v[28:29]
	v_add_f64_e32 v[28:29], v[34:35], v[32:33]
	v_fma_f64 v[32:33], v[208:209], s[8:9], v[44:45]
	v_fma_f64 v[34:35], v[210:211], s[8:9], -v[46:47]
	v_add_f64_e32 v[26:27], v[26:27], v[24:25]
	v_fma_f64 v[24:25], v[238:239], s[0:1], -v[232:233]
	v_mul_f64_e32 v[232:233], s[26:27], v[10:11]
	v_fma_f64 v[44:45], v[208:209], s[8:9], -v[44:45]
	v_fma_f64 v[46:47], v[210:211], s[8:9], v[46:47]
	v_add_f64_e32 v[32:33], v[32:33], v[110:111]
	v_add_f64_e32 v[34:35], v[34:35], v[130:131]
	v_mul_f64_e32 v[130:131], s[34:35], v[8:9]
	v_add_f64_e32 v[24:25], v[24:25], v[226:227]
	v_mul_f64_e32 v[226:227], s[34:35], v[4:5]
	v_add_f64_e32 v[44:45], v[44:45], v[132:133]
	v_add_f64_e32 v[46:47], v[46:47], v[122:123]
	;; [unrolled: 1-line block ×3, first 2 shown]
	v_fma_f64 v[52:53], v[218:219], s[22:23], -v[108:109]
	s_delay_alu instid0(VALU_DEP_4) | instskip(SKIP_1) | instid1(VALU_DEP_3)
	v_add_f64_e32 v[44:45], v[106:107], v[44:45]
	v_fma_f64 v[106:107], v[218:219], s[22:23], v[108:109]
	v_add_f64_e32 v[34:35], v[52:53], v[34:35]
	v_fma_f64 v[52:53], v[220:221], s[10:11], v[118:119]
	s_delay_alu instid0(VALU_DEP_3) | instskip(SKIP_2) | instid1(VALU_DEP_4)
	v_add_f64_e32 v[46:47], v[106:107], v[46:47]
	v_fma_f64 v[106:107], v[220:221], s[10:11], -v[118:119]
	v_fma_f64 v[118:119], v[238:239], s[12:13], v[232:233]
	v_add_f64_e32 v[32:33], v[52:53], v[32:33]
	v_fma_f64 v[52:53], v[222:223], s[10:11], -v[120:121]
	s_delay_alu instid0(VALU_DEP_4) | instskip(SKIP_1) | instid1(VALU_DEP_3)
	v_add_f64_e32 v[44:45], v[106:107], v[44:45]
	v_fma_f64 v[106:107], v[222:223], s[10:11], v[120:121]
	v_add_f64_e32 v[34:35], v[52:53], v[34:35]
	v_fma_f64 v[52:53], v[224:225], s[14:15], v[130:131]
	s_delay_alu instid0(VALU_DEP_3) | instskip(SKIP_1) | instid1(VALU_DEP_3)
	v_add_f64_e32 v[46:47], v[106:107], v[46:47]
	v_fma_f64 v[106:107], v[224:225], s[14:15], -v[130:131]
	v_add_f64_e32 v[32:33], v[52:53], v[32:33]
	v_fma_f64 v[52:53], v[228:229], s[14:15], -v[226:227]
	s_delay_alu instid0(VALU_DEP_3) | instskip(SKIP_1) | instid1(VALU_DEP_3)
	v_add_f64_e32 v[44:45], v[106:107], v[44:45]
	v_fma_f64 v[106:107], v[228:229], s[14:15], v[226:227]
	v_add_f64_e32 v[52:53], v[52:53], v[34:35]
	v_fma_f64 v[34:35], v[234:235], s[12:13], v[230:231]
	s_delay_alu instid0(VALU_DEP_3) | instskip(SKIP_1) | instid1(VALU_DEP_3)
	v_add_f64_e32 v[46:47], v[106:107], v[46:47]
	v_fma_f64 v[106:107], v[234:235], s[12:13], -v[230:231]
	v_add_f64_e32 v[34:35], v[34:35], v[32:33]
	v_fma_f64 v[32:33], v[238:239], s[12:13], -v[232:233]
	s_delay_alu instid0(VALU_DEP_3)
	v_add_f64_e32 v[108:109], v[106:107], v[44:45]
	v_add_f64_e32 v[106:107], v[118:119], v[46:47]
	v_fma_f64 v[44:45], v[210:211], s[14:15], -v[252:253]
	v_fma_f64 v[46:47], v[212:213], s[0:1], v[215:216]
	v_add_f64_e32 v[32:33], v[32:33], v[52:53]
	v_fma_f64 v[52:53], v[208:209], s[0:1], -v[236:237]
	s_delay_alu instid0(VALU_DEP_4) | instskip(NEXT) | instid1(VALU_DEP_2)
	v_add_f64_e32 v[44:45], v[44:45], v[136:137]
	v_add_f64_e32 v[40:41], v[52:53], v[40:41]
	v_fma_f64 v[52:53], v[210:211], s[0:1], v[240:241]
	s_delay_alu instid0(VALU_DEP_1) | instskip(SKIP_1) | instid1(VALU_DEP_1)
	v_add_f64_e32 v[52:53], v[52:53], v[126:127]
	v_mul_f64_e32 v[126:127], s[18:19], v[96:97]
	v_fma_f64 v[54:55], v[212:213], s[14:15], -v[126:127]
	s_delay_alu instid0(VALU_DEP_1) | instskip(SKIP_1) | instid1(VALU_DEP_1)
	v_add_f64_e32 v[40:41], v[54:55], v[40:41]
	v_fma_f64 v[54:55], v[218:219], s[14:15], v[242:243]
	v_add_f64_e32 v[52:53], v[54:55], v[52:53]
	v_fma_f64 v[54:55], v[220:221], s[8:9], -v[244:245]
	s_delay_alu instid0(VALU_DEP_1) | instskip(SKIP_1) | instid1(VALU_DEP_1)
	v_add_f64_e32 v[40:41], v[54:55], v[40:41]
	v_fma_f64 v[54:55], v[222:223], s[8:9], v[142:143]
	v_add_f64_e32 v[52:53], v[54:55], v[52:53]
	;; [unrolled: 5-line block ×3, first 2 shown]
	v_fma_f64 v[54:55], v[234:235], s[22:23], -v[16:17]
	v_fma_f64 v[16:17], v[234:235], s[22:23], v[16:17]
	s_delay_alu instid0(VALU_DEP_2) | instskip(SKIP_1) | instid1(VALU_DEP_1)
	v_add_f64_e32 v[54:55], v[54:55], v[40:41]
	v_fma_f64 v[40:41], v[238:239], s[22:23], v[18:19]
	v_add_f64_e32 v[52:53], v[40:41], v[52:53]
	v_mul_f64_e32 v[40:41], s[18:19], v[100:101]
	s_delay_alu instid0(VALU_DEP_1) | instskip(SKIP_1) | instid1(VALU_DEP_2)
	v_fma_f64 v[110:111], v[208:209], s[14:15], -v[40:41]
	v_fma_f64 v[40:41], v[208:209], s[14:15], v[40:41]
	v_add_f64_e32 v[38:39], v[110:111], v[38:39]
	v_fma_f64 v[110:111], v[210:211], s[14:15], v[252:253]
	s_delay_alu instid0(VALU_DEP_3) | instskip(NEXT) | instid1(VALU_DEP_2)
	v_add_f64_e32 v[40:41], v[40:41], v[134:135]
	v_add_f64_e32 v[110:111], v[110:111], v[112:113]
	v_fma_f64 v[112:113], v[212:213], s[0:1], -v[215:216]
	s_delay_alu instid0(VALU_DEP_3) | instskip(SKIP_1) | instid1(VALU_DEP_3)
	v_add_f64_e32 v[40:41], v[46:47], v[40:41]
	v_fma_f64 v[46:47], v[218:219], s[0:1], -v[140:141]
	v_add_f64_e32 v[38:39], v[112:113], v[38:39]
	v_fma_f64 v[112:113], v[218:219], s[0:1], v[140:141]
	s_delay_alu instid0(VALU_DEP_3) | instskip(SKIP_1) | instid1(VALU_DEP_3)
	v_add_f64_e32 v[44:45], v[46:47], v[44:45]
	v_fma_f64 v[46:47], v[220:221], s[22:23], v[102:103]
	v_add_f64_e32 v[110:111], v[112:113], v[110:111]
	v_fma_f64 v[112:113], v[220:221], s[22:23], -v[102:103]
	s_delay_alu instid0(VALU_DEP_3) | instskip(SKIP_1) | instid1(VALU_DEP_3)
	v_add_f64_e32 v[40:41], v[46:47], v[40:41]
	v_fma_f64 v[46:47], v[222:223], s[22:23], -v[104:105]
	v_add_f64_e32 v[38:39], v[112:113], v[38:39]
	v_fma_f64 v[112:113], v[222:223], s[22:23], v[104:105]
	s_delay_alu instid0(VALU_DEP_3)
	v_add_f64_e32 v[44:45], v[46:47], v[44:45]
	v_fma_f64 v[46:47], v[224:225], s[12:13], v[48:49]
	v_mul_f64_e32 v[48:49], s[28:29], v[96:97]
	v_mul_f64_e32 v[96:97], s[18:19], v[10:11]
	v_add_f64_e32 v[38:39], v[50:51], v[38:39]
	v_mul_f64_e32 v[50:51], s[30:31], v[4:5]
	v_add_f64_e32 v[110:111], v[112:113], v[110:111]
	v_add_f64_e32 v[40:41], v[46:47], v[40:41]
	s_delay_alu instid0(VALU_DEP_3) | instskip(SKIP_2) | instid1(VALU_DEP_3)
	v_fma_f64 v[112:113], v[228:229], s[12:13], v[50:51]
	v_fma_f64 v[46:47], v[228:229], s[12:13], -v[50:51]
	v_fma_f64 v[50:51], v[212:213], s[10:11], -v[48:49]
	v_add_f64_e32 v[110:111], v[112:113], v[110:111]
	v_fma_f64 v[112:113], v[234:235], s[8:9], -v[144:145]
	s_delay_alu instid0(VALU_DEP_4) | instskip(SKIP_1) | instid1(VALU_DEP_3)
	v_add_f64_e32 v[44:45], v[46:47], v[44:45]
	v_fma_f64 v[46:47], v[234:235], s[8:9], v[144:145]
	v_add_f64_e32 v[112:113], v[112:113], v[38:39]
	v_mul_f64_e32 v[38:39], s[16:17], v[10:11]
	s_delay_alu instid0(VALU_DEP_3) | instskip(SKIP_1) | instid1(VALU_DEP_3)
	v_add_f64_e32 v[104:105], v[46:47], v[40:41]
	v_fma_f64 v[40:41], v[210:211], s[0:1], -v[240:241]
	v_fma_f64 v[146:147], v[238:239], s[8:9], v[38:39]
	v_fma_f64 v[38:39], v[238:239], s[8:9], -v[38:39]
	s_delay_alu instid0(VALU_DEP_3) | instskip(NEXT) | instid1(VALU_DEP_3)
	v_add_f64_e32 v[40:41], v[40:41], v[124:125]
	v_add_f64_e32 v[110:111], v[146:147], v[110:111]
	s_delay_alu instid0(VALU_DEP_3)
	v_add_f64_e32 v[102:103], v[38:39], v[44:45]
	v_fma_f64 v[38:39], v[208:209], s[0:1], v[236:237]
	v_fma_f64 v[44:45], v[212:213], s[14:15], v[126:127]
	v_dual_mov_b32 v144, v152 :: v_dual_mov_b32 v145, v153
	v_dual_mov_b32 v146, v154 :: v_dual_mov_b32 v147, v155
	;; [unrolled: 1-line block ×18, first 2 shown]
	v_add_f64_e32 v[38:39], v[38:39], v[114:115]
	v_dual_mov_b32 v203, v3 :: v_dual_mov_b32 v202, v2
	v_dual_mov_b32 v201, v1 :: v_dual_mov_b32 v200, v0
	scratch_load_b64 v[0:1], off, off offset:232 th:TH_LOAD_LU ; 8-byte Folded Reload
	v_add_f64_e32 v[38:39], v[44:45], v[38:39]
	v_fma_f64 v[44:45], v[218:219], s[14:15], -v[242:243]
	s_delay_alu instid0(VALU_DEP_1) | instskip(SKIP_1) | instid1(VALU_DEP_1)
	v_add_f64_e32 v[40:41], v[44:45], v[40:41]
	v_fma_f64 v[44:45], v[220:221], s[8:9], v[244:245]
	v_add_f64_e32 v[38:39], v[44:45], v[38:39]
	v_fma_f64 v[44:45], v[222:223], s[8:9], -v[142:143]
	s_delay_alu instid0(VALU_DEP_1) | instskip(SKIP_1) | instid1(VALU_DEP_1)
	v_add_f64_e32 v[40:41], v[44:45], v[40:41]
	v_fma_f64 v[44:45], v[224:225], s[10:11], v[148:149]
	v_add_f64_e32 v[38:39], v[44:45], v[38:39]
	v_fma_f64 v[44:45], v[228:229], s[10:11], -v[250:251]
	s_delay_alu instid0(VALU_DEP_1) | instskip(SKIP_1) | instid1(VALU_DEP_4)
	v_add_f64_e32 v[40:41], v[44:45], v[40:41]
	v_fma_f64 v[44:45], v[238:239], s[22:23], -v[18:19]
	v_add_f64_e32 v[18:19], v[16:17], v[38:39]
	v_mul_f64_e32 v[38:39], s[30:31], v[100:101]
	s_delay_alu instid0(VALU_DEP_3) | instskip(SKIP_1) | instid1(VALU_DEP_3)
	v_add_f64_e32 v[16:17], v[44:45], v[40:41]
	v_mul_f64_e32 v[44:45], s[30:31], v[98:99]
	v_fma_f64 v[40:41], v[208:209], s[12:13], -v[38:39]
	s_delay_alu instid0(VALU_DEP_2) | instskip(NEXT) | instid1(VALU_DEP_2)
	v_fma_f64 v[46:47], v[210:211], s[12:13], v[44:45]
	v_add_f64_e32 v[40:41], v[40:41], v[138:139]
	s_delay_alu instid0(VALU_DEP_2) | instskip(NEXT) | instid1(VALU_DEP_2)
	v_add_f64_e32 v[46:47], v[46:47], v[172:173]
	v_add_f64_e32 v[40:41], v[50:51], v[40:41]
	v_mul_f64_e32 v[50:51], s[28:29], v[94:95]
	s_delay_alu instid0(VALU_DEP_1) | instskip(NEXT) | instid1(VALU_DEP_1)
	v_fma_f64 v[94:95], v[218:219], s[10:11], v[50:51]
	v_add_f64_e32 v[46:47], v[94:95], v[46:47]
	v_fma_f64 v[94:95], v[220:221], s[0:1], -v[14:15]
	v_fma_f64 v[14:15], v[220:221], s[0:1], v[14:15]
	s_delay_alu instid0(VALU_DEP_2) | instskip(SKIP_2) | instid1(VALU_DEP_2)
	v_add_f64_e32 v[40:41], v[94:95], v[40:41]
	v_fma_f64 v[94:95], v[222:223], s[0:1], v[12:13]
	v_fma_f64 v[12:13], v[222:223], s[0:1], -v[12:13]
	v_add_f64_e32 v[46:47], v[94:95], v[46:47]
	v_mul_f64_e32 v[94:95], s[16:17], v[8:9]
	s_delay_alu instid0(VALU_DEP_1) | instskip(NEXT) | instid1(VALU_DEP_1)
	v_fma_f64 v[8:9], v[224:225], s[8:9], -v[94:95]
	v_add_f64_e32 v[8:9], v[8:9], v[40:41]
	v_mul_f64_e32 v[40:41], s[16:17], v[4:5]
	s_delay_alu instid0(VALU_DEP_1) | instskip(SKIP_1) | instid1(VALU_DEP_2)
	v_fma_f64 v[4:5], v[228:229], s[8:9], v[40:41]
	v_fma_f64 v[40:41], v[228:229], s[8:9], -v[40:41]
	v_add_f64_e32 v[4:5], v[4:5], v[46:47]
	v_mul_f64_e32 v[46:47], s[18:19], v[6:7]
	s_delay_alu instid0(VALU_DEP_1) | instskip(NEXT) | instid1(VALU_DEP_1)
	v_fma_f64 v[6:7], v[234:235], s[14:15], -v[46:47]
	v_add_f64_e32 v[6:7], v[6:7], v[8:9]
	v_fma_f64 v[8:9], v[238:239], s[14:15], v[96:97]
	s_delay_alu instid0(VALU_DEP_1) | instskip(SKIP_4) | instid1(VALU_DEP_1)
	v_add_f64_e32 v[4:5], v[8:9], v[4:5]
	s_wait_loadcnt 0x0
	v_add_f64_e32 v[8:9], v[0:1], v[90:91]
	scratch_load_b64 v[0:1], off, off offset:240 th:TH_LOAD_LU ; 8-byte Folded Reload
	v_add_f64_e32 v[8:9], v[8:9], v[84:85]
	v_add_f64_e32 v[8:9], v[8:9], v[74:75]
	s_delay_alu instid0(VALU_DEP_1) | instskip(NEXT) | instid1(VALU_DEP_1)
	v_add_f64_e32 v[8:9], v[8:9], v[68:69]
	v_add_f64_e32 v[8:9], v[8:9], v[60:61]
	s_delay_alu instid0(VALU_DEP_1) | instskip(NEXT) | instid1(VALU_DEP_1)
	;; [unrolled: 3-line block ×3, first 2 shown]
	v_add_f64_e32 v[8:9], v[8:9], v[80:81]
	v_add_f64_e32 v[8:9], v[8:9], v[88:89]
	s_wait_loadcnt 0x0
	v_add_f64_e32 v[10:11], v[0:1], v[86:87]
	scratch_load_b64 v[0:1], off, off th:TH_LOAD_LU ; 8-byte Folded Reload
	v_add_f64_e32 v[8:9], v[8:9], v[116:117]
	v_add_f64_e32 v[10:11], v[10:11], v[76:77]
	s_delay_alu instid0(VALU_DEP_1) | instskip(NEXT) | instid1(VALU_DEP_1)
	v_add_f64_e32 v[10:11], v[10:11], v[70:71]
	v_add_f64_e32 v[10:11], v[10:11], v[64:65]
	s_delay_alu instid0(VALU_DEP_1) | instskip(NEXT) | instid1(VALU_DEP_1)
	v_add_f64_e32 v[10:11], v[10:11], v[36:37]
	v_add_f64_e32 v[10:11], v[10:11], v[42:43]
	v_fma_f64 v[42:43], v[224:225], s[8:9], v[94:95]
	s_delay_alu instid0(VALU_DEP_2) | instskip(NEXT) | instid1(VALU_DEP_1)
	v_add_f64_e32 v[10:11], v[10:11], v[66:67]
	v_add_f64_e32 v[10:11], v[10:11], v[78:79]
	s_delay_alu instid0(VALU_DEP_1) | instskip(NEXT) | instid1(VALU_DEP_1)
	v_add_f64_e32 v[10:11], v[10:11], v[82:83]
	v_add_f64_e32 v[36:37], v[10:11], v[92:93]
	s_wait_loadcnt 0x0
	v_add_f64_e32 v[10:11], v[8:9], v[0:1]
	scratch_load_b64 v[0:1], off, off offset:216 th:TH_LOAD_LU ; 8-byte Folded Reload
	s_wait_loadcnt 0x0
	v_add_f64_e32 v[8:9], v[36:37], v[0:1]
	v_fma_f64 v[36:37], v[208:209], s[12:13], v[38:39]
	v_fma_f64 v[38:39], v[210:211], s[12:13], -v[44:45]
	v_fma_f64 v[44:45], v[212:213], s[10:11], v[48:49]
	v_fma_f64 v[48:49], v[218:219], s[10:11], -v[50:51]
	s_delay_alu instid0(VALU_DEP_4) | instskip(NEXT) | instid1(VALU_DEP_4)
	v_add_f64_e32 v[36:37], v[36:37], v[174:175]
	v_add_f64_e32 v[38:39], v[38:39], v[128:129]
	s_delay_alu instid0(VALU_DEP_2) | instskip(NEXT) | instid1(VALU_DEP_2)
	v_add_f64_e32 v[36:37], v[44:45], v[36:37]
	v_add_f64_e32 v[38:39], v[48:49], v[38:39]
	s_delay_alu instid0(VALU_DEP_2) | instskip(SKIP_1) | instid1(VALU_DEP_3)
	v_add_f64_e32 v[14:15], v[14:15], v[36:37]
	v_fma_f64 v[36:37], v[234:235], s[14:15], v[46:47]
	v_add_f64_e32 v[12:13], v[12:13], v[38:39]
	v_fma_f64 v[38:39], v[238:239], s[14:15], -v[96:97]
	s_delay_alu instid0(VALU_DEP_4) | instskip(NEXT) | instid1(VALU_DEP_3)
	v_add_f64_e32 v[14:15], v[42:43], v[14:15]
	v_add_f64_e32 v[12:13], v[40:41], v[12:13]
	s_delay_alu instid0(VALU_DEP_2)
	v_add_f64_e32 v[14:15], v[36:37], v[14:15]
	s_clause 0x1
	scratch_load_b32 v36, off, off offset:224 th:TH_LOAD_LU
	scratch_load_b32 v37, off, off offset:228 th:TH_LOAD_LU
	v_add_f64_e32 v[12:13], v[38:39], v[12:13]
	s_wait_loadcnt 0x1
	v_mul_u32_u24_e32 v36, 0x9c, v36
	s_wait_loadcnt 0x0
	s_delay_alu instid0(VALU_DEP_1)
	v_add_lshl_u32 v36, v36, v37, 4
	ds_store_b128 v36, v[52:55] offset:384
	ds_store_b128 v36, v[110:113] offset:576
	;; [unrolled: 1-line block ×11, first 2 shown]
	ds_store_b128 v36, v[8:11]
	ds_store_b128 v36, v[12:15] offset:2304
.LBB0_9:
	s_or_b32 exec_lo, exec_lo, s33
	global_wb scope:SCOPE_SE
	s_wait_storecnt_dscnt 0x0
	s_barrier_signal -1
	s_barrier_wait -1
	global_inv scope:SCOPE_SE
	ds_load_b128 v[0:3], v255 offset:7488
	ds_load_b128 v[4:7], v255 offset:14976
	;; [unrolled: 1-line block ×8, first 2 shown]
	scratch_load_b128 v[64:67], off, off offset:280 th:TH_LOAD_LU ; 16-byte Folded Reload
	s_mov_b32 s0, 0xe8584caa
	s_mov_b32 s1, 0xbfebb67a
	;; [unrolled: 1-line block ×3, first 2 shown]
	s_wait_alu 0xfffe
	s_mov_b32 s8, s0
	s_wait_dscnt 0x6
	v_mul_f64_e32 v[36:37], v[146:147], v[6:7]
	v_mul_f64_e32 v[38:39], v[146:147], v[4:5]
	s_wait_dscnt 0x5
	v_mul_f64_e32 v[40:41], v[157:158], v[10:11]
	v_mul_f64_e32 v[42:43], v[157:158], v[8:9]
	;; [unrolled: 3-line block ×7, first 2 shown]
	v_fma_f64 v[36:37], v[144:145], v[4:5], v[36:37]
	v_fma_f64 v[38:39], v[144:145], v[6:7], -v[38:39]
	v_fma_f64 v[40:41], v[155:156], v[8:9], v[40:41]
	v_fma_f64 v[42:43], v[155:156], v[10:11], -v[42:43]
	;; [unrolled: 2-line block ×7, first 2 shown]
	ds_load_b128 v[4:7], v255 offset:1872
	s_wait_dscnt 0x0
	v_add_f64_e32 v[68:69], v[4:5], v[40:41]
	v_add_f64_e32 v[70:71], v[6:7], v[42:43]
	;; [unrolled: 1-line block ×4, first 2 shown]
	v_add_f64_e64 v[42:43], v[42:43], -v[46:47]
	v_add_f64_e64 v[40:41], v[40:41], -v[44:45]
	v_add_f64_e32 v[56:57], v[16:17], v[20:21]
	v_add_f64_e32 v[58:59], v[18:19], v[22:23]
	v_add_f64_e64 v[80:81], v[18:19], -v[22:23]
	v_add_f64_e64 v[82:83], v[16:17], -v[20:21]
	v_add_f64_e32 v[60:61], v[24:25], v[28:29]
	v_add_f64_e32 v[62:63], v[26:27], v[30:31]
	v_add_f64_e64 v[84:85], v[26:27], -v[30:31]
	v_add_f64_e64 v[86:87], v[24:25], -v[28:29]
	v_fma_f64 v[52:53], v[52:53], -0.5, v[4:5]
	v_fma_f64 v[54:55], v[54:55], -0.5, v[6:7]
	v_add_f64_e32 v[4:5], v[68:69], v[44:45]
	v_add_f64_e32 v[6:7], v[70:71], v[46:47]
	s_wait_loadcnt 0x0
	v_mul_f64_e32 v[32:33], v[66:67], v[2:3]
	v_mul_f64_e32 v[34:35], v[66:67], v[0:1]
	s_delay_alu instid0(VALU_DEP_2) | instskip(NEXT) | instid1(VALU_DEP_2)
	v_fma_f64 v[32:33], v[64:65], v[0:1], v[32:33]
	v_fma_f64 v[34:35], v[64:65], v[2:3], -v[34:35]
	ds_load_b128 v[0:3], v255
	ds_load_b128 v[8:11], v255 offset:3744
	ds_load_b128 v[12:15], v255 offset:5616
	global_wb scope:SCOPE_SE
	s_wait_dscnt 0x0
	s_barrier_signal -1
	s_barrier_wait -1
	global_inv scope:SCOPE_SE
	v_add_f64_e32 v[72:73], v[8:9], v[16:17]
	v_add_f64_e32 v[74:75], v[10:11], v[18:19]
	v_add_f64_e32 v[76:77], v[12:13], v[24:25]
	v_add_f64_e32 v[78:79], v[14:15], v[26:27]
	v_fma_f64 v[56:57], v[56:57], -0.5, v[8:9]
	v_fma_f64 v[58:59], v[58:59], -0.5, v[10:11]
	;; [unrolled: 1-line block ×4, first 2 shown]
	v_fma_f64 v[24:25], v[42:43], s[0:1], v[52:53]
	s_wait_alu 0xfffe
	v_fma_f64 v[26:27], v[40:41], s[8:9], v[54:55]
	v_add_f64_e32 v[48:49], v[32:33], v[36:37]
	v_add_f64_e32 v[50:51], v[34:35], v[38:39]
	;; [unrolled: 1-line block ×3, first 2 shown]
	v_add_f64_e64 v[66:67], v[34:35], -v[38:39]
	v_add_f64_e32 v[34:35], v[2:3], v[34:35]
	v_add_f64_e64 v[32:33], v[32:33], -v[36:37]
	v_add_f64_e32 v[8:9], v[72:73], v[20:21]
	v_add_f64_e32 v[10:11], v[74:75], v[22:23]
	;; [unrolled: 1-line block ×4, first 2 shown]
	v_fma_f64 v[28:29], v[42:43], s[8:9], v[52:53]
	v_fma_f64 v[30:31], v[40:41], s[0:1], v[54:55]
	;; [unrolled: 1-line block ×4, first 2 shown]
	v_fma_f64 v[48:49], v[48:49], -0.5, v[0:1]
	v_fma_f64 v[50:51], v[50:51], -0.5, v[2:3]
	v_add_f64_e32 v[0:1], v[64:65], v[36:37]
	v_add_f64_e32 v[2:3], v[34:35], v[38:39]
	v_fma_f64 v[34:35], v[82:83], s[8:9], v[58:59]
	v_fma_f64 v[16:17], v[66:67], s[0:1], v[48:49]
	;; [unrolled: 1-line block ×10, first 2 shown]
	ds_store_b128 v255, v[0:3]
	ds_store_b128 v255, v[16:19] offset:2496
	ds_store_b128 v255, v[20:23] offset:4992
	ds_store_b128 v217, v[4:7]
	ds_store_b128 v217, v[24:27] offset:2496
	ds_store_b128 v217, v[28:31] offset:4992
	;; [unrolled: 3-line block ×3, first 2 shown]
	ds_store_b128 v150, v[12:15] offset:14976
	ds_store_b128 v150, v[52:55] offset:17472
	;; [unrolled: 1-line block ×3, first 2 shown]
	global_wb scope:SCOPE_SE
	s_wait_dscnt 0x0
	s_barrier_signal -1
	s_barrier_wait -1
	global_inv scope:SCOPE_SE
	ds_load_b128 v[0:3], v255 offset:7488
	ds_load_b128 v[4:7], v255 offset:14976
	;; [unrolled: 1-line block ×8, first 2 shown]
	s_wait_dscnt 0x7
	v_mul_f64_e32 v[32:33], v[178:179], v[2:3]
	s_wait_dscnt 0x6
	v_mul_f64_e32 v[36:37], v[182:183], v[6:7]
	v_mul_f64_e32 v[34:35], v[178:179], v[0:1]
	;; [unrolled: 1-line block ×3, first 2 shown]
	s_wait_dscnt 0x3
	v_mul_f64_e32 v[48:49], v[194:195], v[18:19]
	v_mul_f64_e32 v[40:41], v[190:191], v[10:11]
	;; [unrolled: 1-line block ×6, first 2 shown]
	s_wait_dscnt 0x2
	v_mul_f64_e32 v[50:51], v[198:199], v[22:23]
	v_mul_f64_e32 v[54:55], v[198:199], v[20:21]
	s_wait_dscnt 0x1
	v_mul_f64_e32 v[56:57], v[206:207], v[26:27]
	v_mul_f64_e32 v[58:59], v[206:207], v[24:25]
	;; [unrolled: 3-line block ×3, first 2 shown]
	v_fma_f64 v[32:33], v[176:177], v[0:1], v[32:33]
	v_fma_f64 v[36:37], v[180:181], v[4:5], v[36:37]
	v_fma_f64 v[34:35], v[176:177], v[2:3], -v[34:35]
	ds_load_b128 v[0:3], v255
	v_fma_f64 v[38:39], v[180:181], v[6:7], -v[38:39]
	ds_load_b128 v[4:7], v255 offset:1872
	v_fma_f64 v[16:17], v[192:193], v[16:17], v[48:49]
	v_fma_f64 v[40:41], v[188:189], v[8:9], v[40:41]
	v_fma_f64 v[42:43], v[188:189], v[10:11], -v[42:43]
	v_fma_f64 v[44:45], v[184:185], v[12:13], v[44:45]
	v_fma_f64 v[46:47], v[184:185], v[14:15], -v[46:47]
	ds_load_b128 v[8:11], v255 offset:3744
	ds_load_b128 v[12:15], v255 offset:5616
	v_fma_f64 v[20:21], v[196:197], v[20:21], v[50:51]
	v_fma_f64 v[18:19], v[192:193], v[18:19], -v[52:53]
	v_fma_f64 v[22:23], v[196:197], v[22:23], -v[54:55]
	v_fma_f64 v[24:25], v[204:205], v[24:25], v[56:57]
	v_fma_f64 v[26:27], v[204:205], v[26:27], -v[58:59]
	v_fma_f64 v[28:29], v[200:201], v[28:29], v[60:61]
	v_fma_f64 v[30:31], v[200:201], v[30:31], -v[62:63]
	s_wait_dscnt 0x3
	v_add_f64_e32 v[64:65], v[0:1], v[32:33]
	v_add_f64_e32 v[48:49], v[32:33], v[36:37]
	v_add_f64_e64 v[32:33], v[32:33], -v[36:37]
	v_add_f64_e32 v[50:51], v[34:35], v[38:39]
	v_add_f64_e64 v[66:67], v[34:35], -v[38:39]
	v_add_f64_e32 v[34:35], v[2:3], v[34:35]
	s_wait_dscnt 0x2
	v_add_f64_e32 v[68:69], v[4:5], v[40:41]
	v_add_f64_e32 v[70:71], v[6:7], v[42:43]
	v_add_f64_e32 v[52:53], v[40:41], v[44:45]
	v_add_f64_e32 v[54:55], v[42:43], v[46:47]
	s_wait_dscnt 0x1
	v_add_f64_e32 v[72:73], v[8:9], v[16:17]
	v_add_f64_e32 v[56:57], v[16:17], v[20:21]
	v_add_f64_e32 v[74:75], v[10:11], v[18:19]
	;; [unrolled: 5-line block ×3, first 2 shown]
	v_add_f64_e32 v[62:63], v[26:27], v[30:31]
	v_add_f64_e64 v[42:43], v[42:43], -v[46:47]
	v_add_f64_e64 v[40:41], v[40:41], -v[44:45]
	;; [unrolled: 1-line block ×6, first 2 shown]
	v_fma_f64 v[48:49], v[48:49], -0.5, v[0:1]
	v_add_f64_e32 v[0:1], v[64:65], v[36:37]
	scratch_load_b64 v[36:37], off, off offset:160 th:TH_LOAD_LU ; 8-byte Folded Reload
	v_fma_f64 v[50:51], v[50:51], -0.5, v[2:3]
	v_add_f64_e32 v[2:3], v[34:35], v[38:39]
	v_mad_co_u64_u32 v[38:39], null, s4, v214, 0
	v_fma_f64 v[52:53], v[52:53], -0.5, v[4:5]
	v_fma_f64 v[54:55], v[54:55], -0.5, v[6:7]
	v_add_f64_e32 v[4:5], v[68:69], v[44:45]
	v_fma_f64 v[56:57], v[56:57], -0.5, v[8:9]
	v_add_f64_e32 v[6:7], v[70:71], v[46:47]
	v_fma_f64 v[58:59], v[58:59], -0.5, v[10:11]
	v_add_f64_e32 v[8:9], v[72:73], v[20:21]
	v_add_f64_e32 v[10:11], v[74:75], v[22:23]
	v_fma_f64 v[60:61], v[60:61], -0.5, v[12:13]
	v_fma_f64 v[62:63], v[62:63], -0.5, v[14:15]
	v_add_f64_e32 v[12:13], v[76:77], v[28:29]
	v_add_f64_e32 v[14:15], v[78:79], v[30:31]
	v_fma_f64 v[16:17], v[66:67], s[0:1], v[48:49]
	v_fma_f64 v[20:21], v[66:67], s[8:9], v[48:49]
	;; [unrolled: 1-line block ×16, first 2 shown]
	s_mul_u64 s[0:1], s[4:5], 0x2be0
	ds_store_b128 v255, v[0:3]
	ds_store_b128 v255, v[4:7] offset:1872
	ds_store_b128 v255, v[8:11] offset:3744
	;; [unrolled: 1-line block ×11, first 2 shown]
	global_wb scope:SCOPE_SE
	s_wait_loadcnt_dscnt 0x0
	s_barrier_signal -1
	s_barrier_wait -1
	global_inv scope:SCOPE_SE
	ds_load_b128 v[0:3], v255
	ds_load_b128 v[8:11], v255 offset:1872
	ds_load_b128 v[4:7], v255 offset:11232
	;; [unrolled: 1-line block ×7, first 2 shown]
	v_mov_b32_e32 v40, v36
	s_delay_alu instid0(VALU_DEP_1) | instskip(NEXT) | instid1(VALU_DEP_1)
	v_mad_co_u64_u32 v[36:37], null, s6, v40, 0
	v_mad_co_u64_u32 v[40:41], null, s7, v40, v[37:38]
	v_mov_b32_e32 v37, v39
	s_delay_alu instid0(VALU_DEP_1) | instskip(NEXT) | instid1(VALU_DEP_3)
	v_mad_co_u64_u32 v[41:42], null, s5, v214, v[37:38]
	v_mov_b32_e32 v37, v40
	s_delay_alu instid0(VALU_DEP_1) | instskip(NEXT) | instid1(VALU_DEP_3)
	v_lshlrev_b64_e32 v[32:33], 4, v[36:37]
	v_mov_b32_e32 v39, v41
	s_delay_alu instid0(VALU_DEP_2) | instskip(SKIP_1) | instid1(VALU_DEP_3)
	v_add_co_u32 v98, vcc_lo, s2, v32
	s_wait_alu 0xfffd
	v_add_co_ci_u32_e32 v99, vcc_lo, s3, v33, vcc_lo
	ds_load_b128 v[32:35], v255 offset:7488
	ds_load_b128 v[48:51], v255 offset:9360
	;; [unrolled: 1-line block ×4, first 2 shown]
	s_clause 0x1
	scratch_load_b128 v[104:107], off, off offset:16 th:TH_LOAD_LU
	scratch_load_b128 v[110:113], off, off offset:48 th:TH_LOAD_LU
	v_lshlrev_b64_e32 v[36:37], 4, v[38:39]
	s_movk_i32 s2, 0xdb70
	s_mov_b32 s3, -1
	scratch_load_b128 v[120:123], off, off offset:112 th:TH_LOAD_LU ; 16-byte Folded Reload
	s_wait_alu 0xfffe
	s_mul_u64 s[2:3], s[4:5], s[2:3]
	s_mov_b32 s4, 0xc201756d
	v_add_co_u32 v98, vcc_lo, v98, v36
	s_wait_alu 0xfffd
	v_add_co_ci_u32_e32 v99, vcc_lo, v99, v37, vcc_lo
	s_mov_b32 s5, 0x3f4756ca
	s_delay_alu instid0(VALU_DEP_2) | instskip(SKIP_1) | instid1(VALU_DEP_2)
	v_add_co_u32 v100, vcc_lo, v98, s0
	s_wait_alu 0xfffd
	v_add_co_ci_u32_e32 v101, vcc_lo, s1, v99, vcc_lo
	s_wait_alu 0xfffe
	s_delay_alu instid0(VALU_DEP_2) | instskip(SKIP_1) | instid1(VALU_DEP_2)
	v_add_co_u32 v102, vcc_lo, v100, s2
	s_wait_alu 0xfffd
	v_add_co_ci_u32_e32 v103, vcc_lo, s3, v101, vcc_lo
	s_wait_loadcnt_dscnt 0x20b
	v_mul_f64_e32 v[38:39], v[106:107], v[2:3]
	v_mul_f64_e32 v[40:41], v[106:107], v[0:1]
	s_wait_loadcnt_dscnt 0x109
	v_mul_f64_e32 v[42:43], v[112:113], v[6:7]
	v_mul_f64_e32 v[44:45], v[112:113], v[4:5]
	s_clause 0x1
	scratch_load_b128 v[106:109], off, off offset:32 th:TH_LOAD_LU
	scratch_load_b128 v[112:115], off, off offset:64 th:TH_LOAD_LU
	s_wait_loadcnt_dscnt 0x205
	v_mul_f64_e32 v[70:71], v[122:123], v[26:27]
	v_mul_f64_e32 v[72:73], v[122:123], v[24:25]
	scratch_load_b128 v[122:125], off, off offset:128 th:TH_LOAD_LU ; 16-byte Folded Reload
	v_fma_f64 v[0:1], v[104:105], v[0:1], v[38:39]
	v_fma_f64 v[2:3], v[104:105], v[2:3], -v[40:41]
	v_fma_f64 v[4:5], v[110:111], v[4:5], v[42:43]
	v_fma_f64 v[6:7], v[110:111], v[6:7], -v[44:45]
	;; [unrolled: 2-line block ×3, first 2 shown]
	v_mul_f64_e32 v[0:1], s[4:5], v[0:1]
	v_mul_f64_e32 v[2:3], s[4:5], v[2:3]
	;; [unrolled: 1-line block ×4, first 2 shown]
	s_wait_loadcnt 0x2
	v_mul_f64_e32 v[46:47], v[108:109], v[10:11]
	s_wait_loadcnt 0x1
	v_mul_f64_e32 v[62:63], v[114:115], v[14:15]
	v_mul_f64_e32 v[64:65], v[114:115], v[12:13]
	scratch_load_b128 v[114:117], off, off offset:80 th:TH_LOAD_LU ; 16-byte Folded Reload
	v_mul_f64_e32 v[60:61], v[108:109], v[8:9]
	s_wait_loadcnt_dscnt 0x104
	v_mul_f64_e32 v[78:79], v[124:125], v[30:31]
	v_mul_f64_e32 v[80:81], v[124:125], v[28:29]
	scratch_load_b128 v[124:127], off, off offset:144 th:TH_LOAD_LU ; 16-byte Folded Reload
	v_fma_f64 v[8:9], v[106:107], v[8:9], v[46:47]
	v_fma_f64 v[12:13], v[112:113], v[12:13], v[62:63]
	v_fma_f64 v[14:15], v[112:113], v[14:15], -v[64:65]
	v_fma_f64 v[10:11], v[106:107], v[10:11], -v[60:61]
	v_fma_f64 v[28:29], v[122:123], v[28:29], v[78:79]
	v_fma_f64 v[30:31], v[122:123], v[30:31], -v[80:81]
	v_mul_f64_e32 v[8:9], s[4:5], v[8:9]
	v_mul_f64_e32 v[12:13], s[4:5], v[12:13]
	;; [unrolled: 1-line block ×6, first 2 shown]
	s_wait_loadcnt 0x1
	v_mul_f64_e32 v[66:67], v[116:117], v[18:19]
	v_mul_f64_e32 v[68:69], v[116:117], v[16:17]
	scratch_load_b128 v[116:119], off, off offset:96 th:TH_LOAD_LU ; 16-byte Folded Reload
	s_wait_loadcnt_dscnt 0x103
	v_mul_f64_e32 v[82:83], v[126:127], v[34:35]
	v_mul_f64_e32 v[84:85], v[126:127], v[32:33]
	scratch_load_b128 v[126:129], off, off offset:168 th:TH_LOAD_LU ; 16-byte Folded Reload
	v_fma_f64 v[16:17], v[114:115], v[16:17], v[66:67]
	v_fma_f64 v[18:19], v[114:115], v[18:19], -v[68:69]
	v_fma_f64 v[32:33], v[124:125], v[32:33], v[82:83]
	v_fma_f64 v[34:35], v[124:125], v[34:35], -v[84:85]
	s_delay_alu instid0(VALU_DEP_4) | instskip(NEXT) | instid1(VALU_DEP_4)
	v_mul_f64_e32 v[16:17], s[4:5], v[16:17]
	v_mul_f64_e32 v[18:19], s[4:5], v[18:19]
	s_delay_alu instid0(VALU_DEP_4) | instskip(NEXT) | instid1(VALU_DEP_4)
	v_mul_f64_e32 v[32:33], s[4:5], v[32:33]
	v_mul_f64_e32 v[34:35], s[4:5], v[34:35]
	s_wait_loadcnt 0x1
	v_mul_f64_e32 v[74:75], v[118:119], v[22:23]
	v_mul_f64_e32 v[76:77], v[118:119], v[20:21]
	s_wait_loadcnt_dscnt 0x1
	v_mul_f64_e32 v[86:87], v[128:129], v[54:55]
	v_mul_f64_e32 v[88:89], v[128:129], v[52:53]
	scratch_load_b128 v[128:131], off, off offset:184 th:TH_LOAD_LU ; 16-byte Folded Reload
	v_fma_f64 v[36:37], v[116:117], v[20:21], v[74:75]
	v_fma_f64 v[38:39], v[116:117], v[22:23], -v[76:77]
	v_mul_f64_e32 v[20:21], s[4:5], v[24:25]
	v_mul_f64_e32 v[22:23], s[4:5], v[26:27]
	v_fma_f64 v[40:41], v[126:127], v[52:53], v[86:87]
	v_fma_f64 v[42:43], v[126:127], v[54:55], -v[88:89]
	v_add_co_u32 v52, vcc_lo, v102, s0
	s_wait_alu 0xfffd
	v_add_co_ci_u32_e32 v53, vcc_lo, s1, v103, vcc_lo
	s_delay_alu instid0(VALU_DEP_2) | instskip(SKIP_1) | instid1(VALU_DEP_2)
	v_add_co_u32 v54, vcc_lo, v52, s2
	s_wait_alu 0xfffd
	v_add_co_ci_u32_e32 v55, vcc_lo, s3, v53, vcc_lo
	v_mul_f64_e32 v[24:25], s[4:5], v[36:37]
	v_mul_f64_e32 v[26:27], s[4:5], v[38:39]
	;; [unrolled: 1-line block ×4, first 2 shown]
	s_wait_loadcnt 0x0
	v_mul_f64_e32 v[90:91], v[130:131], v[50:51]
	v_mul_f64_e32 v[92:93], v[130:131], v[48:49]
	scratch_load_b128 v[130:133], off, off offset:200 th:TH_LOAD_LU ; 16-byte Folded Reload
	v_fma_f64 v[44:45], v[128:129], v[48:49], v[90:91]
	v_fma_f64 v[46:47], v[128:129], v[50:51], -v[92:93]
	s_delay_alu instid0(VALU_DEP_2) | instskip(NEXT) | instid1(VALU_DEP_2)
	v_mul_f64_e32 v[40:41], s[4:5], v[44:45]
	v_mul_f64_e32 v[42:43], s[4:5], v[46:47]
	s_wait_loadcnt_dscnt 0x0
	v_mul_f64_e32 v[94:95], v[132:133], v[58:59]
	v_mul_f64_e32 v[96:97], v[132:133], v[56:57]
	s_delay_alu instid0(VALU_DEP_2) | instskip(NEXT) | instid1(VALU_DEP_2)
	v_fma_f64 v[48:49], v[130:131], v[56:57], v[94:95]
	v_fma_f64 v[50:51], v[130:131], v[58:59], -v[96:97]
	v_add_co_u32 v56, vcc_lo, v54, s0
	s_wait_alu 0xfffd
	v_add_co_ci_u32_e32 v57, vcc_lo, s1, v55, vcc_lo
	s_delay_alu instid0(VALU_DEP_4) | instskip(NEXT) | instid1(VALU_DEP_4)
	v_mul_f64_e32 v[44:45], s[4:5], v[48:49]
	v_mul_f64_e32 v[46:47], s[4:5], v[50:51]
	v_add_co_u32 v48, vcc_lo, v56, s2
	s_wait_alu 0xfffd
	v_add_co_ci_u32_e32 v49, vcc_lo, s3, v57, vcc_lo
	s_delay_alu instid0(VALU_DEP_2) | instskip(SKIP_1) | instid1(VALU_DEP_2)
	v_add_co_u32 v50, vcc_lo, v48, s0
	s_wait_alu 0xfffd
	v_add_co_ci_u32_e32 v51, vcc_lo, s1, v49, vcc_lo
	s_delay_alu instid0(VALU_DEP_2) | instskip(SKIP_1) | instid1(VALU_DEP_2)
	;; [unrolled: 4-line block ×5, first 2 shown]
	v_add_co_u32 v64, vcc_lo, v62, s0
	s_wait_alu 0xfffd
	v_add_co_ci_u32_e32 v65, vcc_lo, s1, v63, vcc_lo
	s_clause 0x4
	global_store_b128 v[98:99], v[0:3], off
	global_store_b128 v[100:101], v[4:7], off
	global_store_b128 v[102:103], v[8:11], off
	global_store_b128 v[52:53], v[12:15], off
	global_store_b128 v[54:55], v[16:19], off
	global_store_b128 v[56:57], v[20:23], off
	global_store_b128 v[48:49], v[24:27], off
	global_store_b128 v[50:51], v[28:31], off
	global_store_b128 v[58:59], v[32:35], off
	global_store_b128 v[60:61], v[36:39], off
	global_store_b128 v[62:63], v[40:43], off
	global_store_b128 v[64:65], v[44:47], off
.LBB0_10:
	s_nop 0
	s_sendmsg sendmsg(MSG_DEALLOC_VGPRS)
	s_endpgm
	.section	.rodata,"a",@progbits
	.p2align	6, 0x0
	.amdhsa_kernel bluestein_single_fwd_len1404_dim1_dp_op_CI_CI
		.amdhsa_group_segment_fixed_size 22464
		.amdhsa_private_segment_fixed_size 524
		.amdhsa_kernarg_size 104
		.amdhsa_user_sgpr_count 2
		.amdhsa_user_sgpr_dispatch_ptr 0
		.amdhsa_user_sgpr_queue_ptr 0
		.amdhsa_user_sgpr_kernarg_segment_ptr 1
		.amdhsa_user_sgpr_dispatch_id 0
		.amdhsa_user_sgpr_private_segment_size 0
		.amdhsa_wavefront_size32 1
		.amdhsa_uses_dynamic_stack 0
		.amdhsa_enable_private_segment 1
		.amdhsa_system_sgpr_workgroup_id_x 1
		.amdhsa_system_sgpr_workgroup_id_y 0
		.amdhsa_system_sgpr_workgroup_id_z 0
		.amdhsa_system_sgpr_workgroup_info 0
		.amdhsa_system_vgpr_workitem_id 0
		.amdhsa_next_free_vgpr 256
		.amdhsa_next_free_sgpr 48
		.amdhsa_reserve_vcc 1
		.amdhsa_float_round_mode_32 0
		.amdhsa_float_round_mode_16_64 0
		.amdhsa_float_denorm_mode_32 3
		.amdhsa_float_denorm_mode_16_64 3
		.amdhsa_fp16_overflow 0
		.amdhsa_workgroup_processor_mode 1
		.amdhsa_memory_ordered 1
		.amdhsa_forward_progress 0
		.amdhsa_round_robin_scheduling 0
		.amdhsa_exception_fp_ieee_invalid_op 0
		.amdhsa_exception_fp_denorm_src 0
		.amdhsa_exception_fp_ieee_div_zero 0
		.amdhsa_exception_fp_ieee_overflow 0
		.amdhsa_exception_fp_ieee_underflow 0
		.amdhsa_exception_fp_ieee_inexact 0
		.amdhsa_exception_int_div_zero 0
	.end_amdhsa_kernel
	.text
.Lfunc_end0:
	.size	bluestein_single_fwd_len1404_dim1_dp_op_CI_CI, .Lfunc_end0-bluestein_single_fwd_len1404_dim1_dp_op_CI_CI
                                        ; -- End function
	.section	.AMDGPU.csdata,"",@progbits
; Kernel info:
; codeLenInByte = 21504
; NumSgprs: 50
; NumVgprs: 256
; ScratchSize: 524
; MemoryBound: 0
; FloatMode: 240
; IeeeMode: 1
; LDSByteSize: 22464 bytes/workgroup (compile time only)
; SGPRBlocks: 6
; VGPRBlocks: 31
; NumSGPRsForWavesPerEU: 50
; NumVGPRsForWavesPerEU: 256
; Occupancy: 5
; WaveLimiterHint : 1
; COMPUTE_PGM_RSRC2:SCRATCH_EN: 1
; COMPUTE_PGM_RSRC2:USER_SGPR: 2
; COMPUTE_PGM_RSRC2:TRAP_HANDLER: 0
; COMPUTE_PGM_RSRC2:TGID_X_EN: 1
; COMPUTE_PGM_RSRC2:TGID_Y_EN: 0
; COMPUTE_PGM_RSRC2:TGID_Z_EN: 0
; COMPUTE_PGM_RSRC2:TIDIG_COMP_CNT: 0
	.text
	.p2alignl 7, 3214868480
	.fill 96, 4, 3214868480
	.type	__hip_cuid_a426cadff9518f52,@object ; @__hip_cuid_a426cadff9518f52
	.section	.bss,"aw",@nobits
	.globl	__hip_cuid_a426cadff9518f52
__hip_cuid_a426cadff9518f52:
	.byte	0                               ; 0x0
	.size	__hip_cuid_a426cadff9518f52, 1

	.ident	"AMD clang version 19.0.0git (https://github.com/RadeonOpenCompute/llvm-project roc-6.4.0 25133 c7fe45cf4b819c5991fe208aaa96edf142730f1d)"
	.section	".note.GNU-stack","",@progbits
	.addrsig
	.addrsig_sym __hip_cuid_a426cadff9518f52
	.amdgpu_metadata
---
amdhsa.kernels:
  - .args:
      - .actual_access:  read_only
        .address_space:  global
        .offset:         0
        .size:           8
        .value_kind:     global_buffer
      - .actual_access:  read_only
        .address_space:  global
        .offset:         8
        .size:           8
        .value_kind:     global_buffer
      - .actual_access:  read_only
        .address_space:  global
        .offset:         16
        .size:           8
        .value_kind:     global_buffer
      - .actual_access:  read_only
        .address_space:  global
        .offset:         24
        .size:           8
        .value_kind:     global_buffer
      - .actual_access:  read_only
        .address_space:  global
        .offset:         32
        .size:           8
        .value_kind:     global_buffer
      - .offset:         40
        .size:           8
        .value_kind:     by_value
      - .address_space:  global
        .offset:         48
        .size:           8
        .value_kind:     global_buffer
      - .address_space:  global
        .offset:         56
        .size:           8
        .value_kind:     global_buffer
      - .address_space:  global
        .offset:         64
        .size:           8
        .value_kind:     global_buffer
      - .address_space:  global
        .offset:         72
        .size:           8
        .value_kind:     global_buffer
      - .offset:         80
        .size:           4
        .value_kind:     by_value
      - .address_space:  global
        .offset:         88
        .size:           8
        .value_kind:     global_buffer
      - .address_space:  global
        .offset:         96
        .size:           8
        .value_kind:     global_buffer
    .group_segment_fixed_size: 22464
    .kernarg_segment_align: 8
    .kernarg_segment_size: 104
    .language:       OpenCL C
    .language_version:
      - 2
      - 0
    .max_flat_workgroup_size: 117
    .name:           bluestein_single_fwd_len1404_dim1_dp_op_CI_CI
    .private_segment_fixed_size: 524
    .sgpr_count:     50
    .sgpr_spill_count: 0
    .symbol:         bluestein_single_fwd_len1404_dim1_dp_op_CI_CI.kd
    .uniform_work_group_size: 1
    .uses_dynamic_stack: false
    .vgpr_count:     256
    .vgpr_spill_count: 141
    .wavefront_size: 32
    .workgroup_processor_mode: 1
amdhsa.target:   amdgcn-amd-amdhsa--gfx1201
amdhsa.version:
  - 1
  - 2
...

	.end_amdgpu_metadata
